;; amdgpu-corpus repo=ROCm/rocFFT kind=compiled arch=gfx1201 opt=O3
	.text
	.amdgcn_target "amdgcn-amd-amdhsa--gfx1201"
	.amdhsa_code_object_version 6
	.protected	bluestein_single_back_len1377_dim1_dp_op_CI_CI ; -- Begin function bluestein_single_back_len1377_dim1_dp_op_CI_CI
	.globl	bluestein_single_back_len1377_dim1_dp_op_CI_CI
	.p2align	8
	.type	bluestein_single_back_len1377_dim1_dp_op_CI_CI,@function
bluestein_single_back_len1377_dim1_dp_op_CI_CI: ; @bluestein_single_back_len1377_dim1_dp_op_CI_CI
; %bb.0:
	s_load_b128 s[12:15], s[0:1], 0x28
	v_mul_u32_u24_e32 v1, 0x506, v0
	s_mov_b32 s2, exec_lo
	v_mov_b32_e32 v6, 0
	s_delay_alu instid0(VALU_DEP_2) | instskip(NEXT) | instid1(VALU_DEP_1)
	v_lshrrev_b32_e32 v1, 16, v1
	v_add_nc_u32_e32 v5, ttmp9, v1
	s_wait_kmcnt 0x0
	s_delay_alu instid0(VALU_DEP_1)
	v_cmpx_gt_u64_e64 s[12:13], v[5:6]
	s_cbranch_execz .LBB0_15
; %bb.1:
	s_clause 0x1
	s_load_b128 s[4:7], s[0:1], 0x18
	s_load_b64 s[12:13], s[0:1], 0x0
	v_mul_lo_u16 v1, v1, 51
	v_mov_b32_e32 v6, v5
	s_delay_alu instid0(VALU_DEP_2) | instskip(NEXT) | instid1(VALU_DEP_1)
	v_sub_nc_u16 v2, v0, v1
	v_and_b32_e32 v7, 0xffff, v2
	s_clause 0x1
	scratch_store_b64 off, v[6:7], off offset:188
	scratch_store_b32 off, v7, off
	v_lshlrev_b32_e32 v255, 4, v7
	s_wait_kmcnt 0x0
	s_load_b128 s[8:11], s[4:5], 0x0
	s_wait_kmcnt 0x0
	v_mad_co_u64_u32 v[0:1], null, s10, v5, 0
	v_mad_co_u64_u32 v[3:4], null, s8, v7, 0
	s_mul_u64 s[2:3], s[8:9], 0x51
	s_delay_alu instid0(VALU_DEP_2) | instskip(NEXT) | instid1(VALU_DEP_1)
	v_mad_co_u64_u32 v[5:6], null, s11, v5, v[1:2]
	v_mad_co_u64_u32 v[6:7], null, s9, v7, v[4:5]
	v_mov_b32_e32 v1, v5
	s_delay_alu instid0(VALU_DEP_1) | instskip(NEXT) | instid1(VALU_DEP_3)
	v_lshlrev_b64_e32 v[0:1], 4, v[0:1]
	v_mov_b32_e32 v4, v6
	s_clause 0xb
	global_load_b128 v[183:186], v255, s[12:13]
	global_load_b128 v[191:194], v255, s[12:13] offset:1296
	global_load_b128 v[187:190], v255, s[12:13] offset:2592
	;; [unrolled: 1-line block ×11, first 2 shown]
	v_lshlrev_b64_e32 v[3:4], 4, v[3:4]
	v_add_co_u32 v0, vcc_lo, s14, v0
	v_add_co_ci_u32_e32 v1, vcc_lo, s15, v1, vcc_lo
	s_lshl_b64 s[14:15], s[2:3], 4
	s_delay_alu instid0(VALU_DEP_2) | instskip(SKIP_1) | instid1(VALU_DEP_2)
	v_add_co_u32 v0, vcc_lo, v0, v3
	s_wait_alu 0xfffd
	v_add_co_ci_u32_e32 v1, vcc_lo, v1, v4, vcc_lo
	s_clause 0x1
	global_load_b128 v[167:170], v255, s[12:13] offset:15552
	global_load_b128 v[171:174], v255, s[12:13] offset:16848
	s_wait_alu 0xfffe
	v_add_co_u32 v7, vcc_lo, v0, s14
	s_wait_alu 0xfffd
	v_add_co_ci_u32_e32 v8, vcc_lo, s15, v1, vcc_lo
	s_delay_alu instid0(VALU_DEP_2) | instskip(SKIP_1) | instid1(VALU_DEP_2)
	v_add_co_u32 v11, vcc_lo, v7, s14
	s_wait_alu 0xfffd
	v_add_co_ci_u32_e32 v12, vcc_lo, s15, v8, vcc_lo
	s_clause 0x1
	global_load_b128 v[3:6], v[0:1], off
	global_load_b128 v[7:10], v[7:8], off
	v_add_co_u32 v15, vcc_lo, v11, s14
	s_wait_alu 0xfffd
	v_add_co_ci_u32_e32 v16, vcc_lo, s15, v12, vcc_lo
	s_delay_alu instid0(VALU_DEP_2) | instskip(SKIP_1) | instid1(VALU_DEP_2)
	v_add_co_u32 v0, vcc_lo, v15, s14
	s_wait_alu 0xfffd
	v_add_co_ci_u32_e32 v1, vcc_lo, s15, v16, vcc_lo
	s_clause 0x1
	global_load_b128 v[11:14], v[11:12], off
	global_load_b128 v[15:18], v[15:16], off
	v_add_co_u32 v23, vcc_lo, v0, s14
	s_wait_alu 0xfffd
	v_add_co_ci_u32_e32 v24, vcc_lo, s15, v1, vcc_lo
	global_load_b128 v[19:22], v[0:1], off
	v_add_co_u32 v0, vcc_lo, v23, s14
	s_wait_alu 0xfffd
	v_add_co_ci_u32_e32 v1, vcc_lo, s15, v24, vcc_lo
	global_load_b128 v[23:26], v[23:24], off
	v_add_co_u32 v31, vcc_lo, v0, s14
	s_wait_alu 0xfffd
	v_add_co_ci_u32_e32 v32, vcc_lo, s15, v1, vcc_lo
	global_load_b128 v[27:30], v[0:1], off
	v_add_co_u32 v0, vcc_lo, v31, s14
	s_wait_alu 0xfffd
	v_add_co_ci_u32_e32 v1, vcc_lo, s15, v32, vcc_lo
	global_load_b128 v[31:34], v[31:32], off
	v_add_co_u32 v39, vcc_lo, v0, s14
	s_wait_alu 0xfffd
	v_add_co_ci_u32_e32 v40, vcc_lo, s15, v1, vcc_lo
	global_load_b128 v[35:38], v[0:1], off
	v_add_co_u32 v0, vcc_lo, v39, s14
	s_wait_alu 0xfffd
	v_add_co_ci_u32_e32 v1, vcc_lo, s15, v40, vcc_lo
	global_load_b128 v[39:42], v[39:40], off
	v_add_co_u32 v47, vcc_lo, v0, s14
	s_wait_alu 0xfffd
	v_add_co_ci_u32_e32 v48, vcc_lo, s15, v1, vcc_lo
	global_load_b128 v[43:46], v[0:1], off
	v_add_co_u32 v0, vcc_lo, v47, s14
	s_wait_alu 0xfffd
	v_add_co_ci_u32_e32 v1, vcc_lo, s15, v48, vcc_lo
	global_load_b128 v[47:50], v[47:48], off
	v_add_co_u32 v55, vcc_lo, v0, s14
	s_wait_alu 0xfffd
	v_add_co_ci_u32_e32 v56, vcc_lo, s15, v1, vcc_lo
	global_load_b128 v[51:54], v[0:1], off
	v_add_co_u32 v0, vcc_lo, v55, s14
	s_wait_alu 0xfffd
	v_add_co_ci_u32_e32 v1, vcc_lo, s15, v56, vcc_lo
	global_load_b128 v[55:58], v[55:56], off
	v_add_co_u32 v63, vcc_lo, v0, s14
	s_wait_alu 0xfffd
	v_add_co_ci_u32_e32 v64, vcc_lo, s15, v1, vcc_lo
	global_load_b128 v[59:62], v[0:1], off
	v_add_co_u32 v0, vcc_lo, v63, s14
	s_wait_alu 0xfffd
	v_add_co_ci_u32_e32 v1, vcc_lo, s15, v64, vcc_lo
	s_clause 0x1
	global_load_b128 v[199:202], v255, s[12:13] offset:18144
	global_load_b128 v[195:198], v255, s[12:13] offset:19440
	global_load_b128 v[63:66], v[63:64], off
	global_load_b128 v[203:206], v255, s[12:13] offset:20736
	global_load_b128 v[67:70], v[0:1], off
	v_cmp_gt_u16_e32 vcc_lo, 30, v2
	s_wait_loadcnt 0x1f
	s_clause 0x1
	scratch_store_b128 off, v[187:190], off offset:324
	scratch_store_b128 off, v[183:186], off offset:308
	s_wait_loadcnt 0x1e
	s_clause 0x1
	scratch_store_b128 off, v[179:182], off offset:292
	scratch_store_b128 off, v[191:194], off offset:340
	s_wait_loadcnt 0x1d
	scratch_store_b128 off, v[175:178], off offset:276 ; 16-byte Folded Spill
	s_wait_loadcnt 0x1c
	scratch_store_b128 off, v[155:158], off offset:196 ; 16-byte Folded Spill
	s_wait_loadcnt 0x17
	s_clause 0x4
	scratch_store_b128 off, v[159:162], off offset:212
	scratch_store_b128 off, v[139:142], off offset:124
	;; [unrolled: 1-line block ×5, first 2 shown]
	s_wait_loadcnt 0x16
	scratch_store_b128 off, v[163:166], off offset:228 ; 16-byte Folded Spill
	s_wait_loadcnt 0x15
	scratch_store_b128 off, v[167:170], off offset:244 ; 16-byte Folded Spill
	;; [unrolled: 2-line block ×3, first 2 shown]
	s_wait_loadcnt 0x13
	v_mul_f64_e32 v[71:72], v[5:6], v[185:186]
	v_mul_f64_e32 v[73:74], v[3:4], v[185:186]
	s_wait_loadcnt 0x12
	v_mul_f64_e32 v[75:76], v[9:10], v[193:194]
	v_mul_f64_e32 v[77:78], v[7:8], v[193:194]
	;; [unrolled: 3-line block ×9, first 2 shown]
	v_fma_f64 v[3:4], v[3:4], v[183:184], v[71:72]
	v_fma_f64 v[5:6], v[5:6], v[183:184], -v[73:74]
	v_fma_f64 v[7:8], v[7:8], v[191:192], v[75:76]
	s_wait_loadcnt 0xa
	v_mul_f64_e32 v[107:108], v[41:42], v[153:154]
	v_mul_f64_e32 v[109:110], v[39:40], v[153:154]
	v_fma_f64 v[9:10], v[9:10], v[191:192], -v[77:78]
	v_add_co_u32 v71, s2, s12, v255
	s_wait_loadcnt 0x9
	v_mul_f64_e32 v[111:112], v[45:46], v[161:162]
	v_mul_f64_e32 v[113:114], v[43:44], v[161:162]
	v_fma_f64 v[11:12], v[11:12], v[187:188], v[79:80]
	v_fma_f64 v[13:14], v[13:14], v[187:188], -v[81:82]
	v_fma_f64 v[15:16], v[15:16], v[179:180], v[83:84]
	s_wait_loadcnt 0x8
	v_mul_f64_e32 v[115:116], v[49:50], v[165:166]
	v_mul_f64_e32 v[117:118], v[47:48], v[165:166]
	v_fma_f64 v[17:18], v[17:18], v[179:180], -v[85:86]
	v_fma_f64 v[19:20], v[19:20], v[175:176], v[87:88]
	v_fma_f64 v[21:22], v[21:22], v[175:176], -v[89:90]
	s_wait_loadcnt 0x7
	v_mul_f64_e32 v[119:120], v[53:54], v[169:170]
	v_mul_f64_e32 v[121:122], v[51:52], v[169:170]
	v_add_co_ci_u32_e64 v72, null, s13, 0, s2
	v_fma_f64 v[23:24], v[23:24], v[155:156], v[91:92]
	s_wait_loadcnt 0x6
	v_mul_f64_e32 v[123:124], v[57:58], v[173:174]
	v_mul_f64_e32 v[125:126], v[55:56], v[173:174]
	v_fma_f64 v[25:26], v[25:26], v[155:156], -v[93:94]
	v_fma_f64 v[27:28], v[27:28], v[139:140], v[95:96]
	v_fma_f64 v[29:30], v[29:30], v[139:140], -v[97:98]
	s_wait_loadcnt 0x4
	v_mul_f64_e32 v[127:128], v[61:62], v[201:202]
	v_mul_f64_e32 v[129:130], v[59:60], v[201:202]
	s_wait_loadcnt 0x2
	v_mul_f64_e32 v[131:132], v[65:66], v[197:198]
	v_mul_f64_e32 v[133:134], v[63:64], v[197:198]
	;; [unrolled: 3-line block ×3, first 2 shown]
	v_fma_f64 v[31:32], v[31:32], v[143:144], v[99:100]
	v_fma_f64 v[33:34], v[33:34], v[143:144], -v[101:102]
	v_fma_f64 v[35:36], v[35:36], v[147:148], v[103:104]
	v_fma_f64 v[37:38], v[37:38], v[147:148], -v[105:106]
	s_clause 0x1
	scratch_store_b128 off, v[199:202], off offset:372
	scratch_store_b128 off, v[195:198], off offset:356
	v_fma_f64 v[39:40], v[39:40], v[151:152], v[107:108]
	v_fma_f64 v[41:42], v[41:42], v[151:152], -v[109:110]
	scratch_store_b128 off, v[203:206], off offset:388 ; 16-byte Folded Spill
	s_load_b64 s[10:11], s[0:1], 0x38
	s_load_b128 s[4:7], s[6:7], 0x0
	scratch_store_b64 off, v[71:72], off offset:4 ; 8-byte Folded Spill
	v_fma_f64 v[43:44], v[43:44], v[159:160], v[111:112]
	v_fma_f64 v[45:46], v[45:46], v[159:160], -v[113:114]
	v_fma_f64 v[47:48], v[47:48], v[163:164], v[115:116]
	v_fma_f64 v[49:50], v[49:50], v[163:164], -v[117:118]
	ds_store_b128 v255, v[3:6]
	ds_store_b128 v255, v[7:10] offset:1296
	ds_store_b128 v255, v[11:14] offset:2592
	;; [unrolled: 1-line block ×11, first 2 shown]
	v_fma_f64 v[51:52], v[51:52], v[167:168], v[119:120]
	v_fma_f64 v[53:54], v[53:54], v[167:168], -v[121:122]
	v_fma_f64 v[55:56], v[55:56], v[171:172], v[123:124]
	v_fma_f64 v[57:58], v[57:58], v[171:172], -v[125:126]
	;; [unrolled: 2-line block ×5, first 2 shown]
	ds_store_b128 v255, v[51:54] offset:15552
	ds_store_b128 v255, v[55:58] offset:16848
	;; [unrolled: 1-line block ×5, first 2 shown]
	s_and_saveexec_b32 s3, vcc_lo
	s_cbranch_execz .LBB0_3
; %bb.2:
	scratch_load_b64 v[128:129], off, off offset:4 ; 8-byte Folded Reload
	v_mad_co_u64_u32 v[24:25], null, 0xffffb230, s8, v[0:1]
	s_mul_i32 s2, s9, 0xffffb230
	s_wait_loadcnt 0x0
	s_clause 0x1
	global_load_b128 v[0:3], v[128:129], off offset:816
	global_load_b128 v[4:7], v[128:129], off offset:2112
	s_wait_alu 0xfffe
	s_sub_co_i32 s2, s2, s8
	s_clause 0x1
	global_load_b128 v[8:11], v[128:129], off offset:3408
	global_load_b128 v[12:15], v[128:129], off offset:4704
	s_wait_alu 0xfffe
	v_add_nc_u32_e32 v25, s2, v25
	v_add_co_u32 v28, s2, v24, s14
	s_clause 0x1
	global_load_b128 v[16:19], v[128:129], off offset:6000
	global_load_b128 v[20:23], v[128:129], off offset:7296
	s_wait_alu 0xf1ff
	v_add_co_ci_u32_e64 v29, s2, s15, v25, s2
	v_add_co_u32 v32, s2, v28, s14
	global_load_b128 v[24:27], v[24:25], off
	s_wait_alu 0xf1ff
	v_add_co_ci_u32_e64 v33, s2, s15, v29, s2
	v_add_co_u32 v36, s2, v32, s14
	global_load_b128 v[28:31], v[28:29], off
	;; [unrolled: 4-line block ×3, first 2 shown]
	s_wait_alu 0xf1ff
	v_add_co_ci_u32_e64 v41, s2, s15, v37, s2
	v_add_co_u32 v44, s2, v40, s14
	s_wait_alu 0xf1ff
	s_delay_alu instid0(VALU_DEP_2) | instskip(NEXT) | instid1(VALU_DEP_2)
	v_add_co_ci_u32_e64 v45, s2, s15, v41, s2
	v_add_co_u32 v48, s2, v44, s14
	s_wait_alu 0xf1ff
	s_delay_alu instid0(VALU_DEP_2) | instskip(NEXT) | instid1(VALU_DEP_2)
	;; [unrolled: 4-line block ×3, first 2 shown]
	v_add_co_ci_u32_e64 v57, s2, s15, v49, s2
	v_add_co_u32 v64, s2, v56, s14
	global_load_b128 v[36:39], v[36:37], off
	global_load_b128 v[40:43], v[40:41], off
	;; [unrolled: 1-line block ×5, first 2 shown]
	s_wait_alu 0xf1ff
	v_add_co_ci_u32_e64 v65, s2, s15, v57, s2
	v_add_co_u32 v68, s2, v64, s14
	s_clause 0x1
	global_load_b128 v[56:59], v[128:129], off offset:8592
	global_load_b128 v[60:63], v[128:129], off offset:9888
	s_wait_alu 0xf1ff
	v_add_co_ci_u32_e64 v69, s2, s15, v65, s2
	v_add_co_u32 v80, s2, v68, s14
	global_load_b128 v[64:67], v[64:65], off
	s_wait_alu 0xf1ff
	v_add_co_ci_u32_e64 v81, s2, s15, v69, s2
	v_add_co_u32 v84, s2, v80, s14
	global_load_b128 v[68:71], v[68:69], off
	s_wait_alu 0xf1ff
	v_add_co_ci_u32_e64 v85, s2, s15, v81, s2
	v_add_co_u32 v96, s2, v84, s14
	s_clause 0x1
	global_load_b128 v[72:75], v[128:129], off offset:11184
	global_load_b128 v[76:79], v[128:129], off offset:12480
	s_wait_alu 0xf1ff
	v_add_co_ci_u32_e64 v97, s2, s15, v85, s2
	v_add_co_u32 v104, s2, v96, s14
	global_load_b128 v[80:83], v[80:81], off
	s_wait_alu 0xf1ff
	v_add_co_ci_u32_e64 v105, s2, s15, v97, s2
	v_add_co_u32 v112, s2, v104, s14
	global_load_b128 v[84:87], v[84:85], off
	s_clause 0x1
	global_load_b128 v[88:91], v[128:129], off offset:13776
	global_load_b128 v[92:95], v[128:129], off offset:15072
	global_load_b128 v[96:99], v[96:97], off
	global_load_b128 v[100:103], v[104:105], off
	s_wait_alu 0xf1ff
	v_add_co_ci_u32_e64 v113, s2, s15, v105, s2
	v_add_co_u32 v120, s2, v112, s14
	s_clause 0x1
	global_load_b128 v[104:107], v[128:129], off offset:16368
	global_load_b128 v[108:111], v[128:129], off offset:17664
	s_wait_alu 0xf1ff
	v_add_co_ci_u32_e64 v121, s2, s15, v113, s2
	v_add_co_u32 v132, s2, v120, s14
	global_load_b128 v[112:115], v[112:113], off
	s_wait_alu 0xf1ff
	v_add_co_ci_u32_e64 v133, s2, s15, v121, s2
	global_load_b128 v[116:119], v[128:129], off offset:18960
	global_load_b128 v[120:123], v[120:121], off
	s_clause 0x1
	global_load_b128 v[124:127], v[128:129], off offset:20256
	global_load_b128 v[128:131], v[128:129], off offset:21552
	global_load_b128 v[132:135], v[132:133], off
	s_wait_loadcnt 0x1b
	v_mul_f64_e32 v[136:137], v[26:27], v[2:3]
	v_mul_f64_e32 v[2:3], v[24:25], v[2:3]
	s_wait_loadcnt 0x1a
	v_mul_f64_e32 v[138:139], v[30:31], v[6:7]
	v_mul_f64_e32 v[6:7], v[28:29], v[6:7]
	;; [unrolled: 3-line block ×8, first 2 shown]
	v_fma_f64 v[22:23], v[24:25], v[0:1], v[136:137]
	v_fma_f64 v[24:25], v[26:27], v[0:1], -v[2:3]
	v_fma_f64 v[0:1], v[28:29], v[4:5], v[138:139]
	v_fma_f64 v[2:3], v[30:31], v[4:5], -v[6:7]
	v_fma_f64 v[4:5], v[32:33], v[8:9], v[140:141]
	s_wait_loadcnt 0xf
	v_mul_f64_e32 v[154:155], v[66:67], v[74:75]
	v_mul_f64_e32 v[74:75], v[64:65], v[74:75]
	s_wait_loadcnt 0xe
	v_mul_f64_e32 v[156:157], v[70:71], v[78:79]
	v_mul_f64_e32 v[78:79], v[68:69], v[78:79]
	v_fma_f64 v[6:7], v[34:35], v[8:9], -v[10:11]
	s_wait_loadcnt 0xb
	v_mul_f64_e32 v[158:159], v[82:83], v[90:91]
	v_mul_f64_e32 v[90:91], v[80:81], v[90:91]
	s_wait_loadcnt 0xa
	v_mul_f64_e32 v[160:161], v[86:87], v[94:95]
	v_mul_f64_e32 v[94:95], v[84:85], v[94:95]
	;; [unrolled: 3-line block ×4, first 2 shown]
	v_fma_f64 v[8:9], v[36:37], v[12:13], v[142:143]
	v_fma_f64 v[10:11], v[38:39], v[12:13], -v[14:15]
	s_wait_loadcnt 0x4
	v_mul_f64_e32 v[166:167], v[114:115], v[118:119]
	v_mul_f64_e32 v[118:119], v[112:113], v[118:119]
	s_wait_loadcnt 0x2
	v_mul_f64_e32 v[168:169], v[122:123], v[126:127]
	v_mul_f64_e32 v[126:127], v[120:121], v[126:127]
	;; [unrolled: 3-line block ×3, first 2 shown]
	v_fma_f64 v[12:13], v[40:41], v[16:17], v[144:145]
	v_fma_f64 v[14:15], v[42:43], v[16:17], -v[18:19]
	v_fma_f64 v[16:17], v[44:45], v[20:21], v[146:147]
	v_fma_f64 v[18:19], v[46:47], v[20:21], -v[148:149]
	v_fma_f64 v[26:27], v[48:49], v[56:57], v[150:151]
	v_fma_f64 v[28:29], v[50:51], v[56:57], -v[58:59]
	v_fma_f64 v[30:31], v[52:53], v[60:61], v[152:153]
	v_fma_f64 v[32:33], v[54:55], v[60:61], -v[62:63]
	v_fma_f64 v[34:35], v[64:65], v[72:73], v[154:155]
	v_fma_f64 v[36:37], v[66:67], v[72:73], -v[74:75]
	v_fma_f64 v[38:39], v[68:69], v[76:77], v[156:157]
	v_fma_f64 v[40:41], v[70:71], v[76:77], -v[78:79]
	v_fma_f64 v[42:43], v[80:81], v[88:89], v[158:159]
	v_fma_f64 v[44:45], v[82:83], v[88:89], -v[90:91]
	v_fma_f64 v[46:47], v[84:85], v[92:93], v[160:161]
	v_fma_f64 v[48:49], v[86:87], v[92:93], -v[94:95]
	v_fma_f64 v[50:51], v[96:97], v[104:105], v[162:163]
	v_fma_f64 v[52:53], v[98:99], v[104:105], -v[106:107]
	v_fma_f64 v[54:55], v[100:101], v[108:109], v[164:165]
	v_fma_f64 v[56:57], v[102:103], v[108:109], -v[110:111]
	v_fma_f64 v[58:59], v[112:113], v[116:117], v[166:167]
	v_fma_f64 v[60:61], v[114:115], v[116:117], -v[118:119]
	v_fma_f64 v[62:63], v[120:121], v[124:125], v[168:169]
	v_fma_f64 v[64:65], v[122:123], v[124:125], -v[126:127]
	v_fma_f64 v[66:67], v[132:133], v[128:129], v[170:171]
	v_fma_f64 v[68:69], v[134:135], v[128:129], -v[130:131]
	ds_store_b128 v255, v[22:25] offset:816
	ds_store_b128 v255, v[0:3] offset:2112
	;; [unrolled: 1-line block ×17, first 2 shown]
.LBB0_3:
	s_wait_alu 0xfffe
	s_or_b32 exec_lo, exec_lo, s3
	global_wb scope:SCOPE_SE
	s_wait_storecnt_dscnt 0x0
	s_wait_kmcnt 0x0
	s_barrier_signal -1
	s_barrier_wait -1
	global_inv scope:SCOPE_SE
	ds_load_b128 v[68:71], v255
	ds_load_b128 v[72:75], v255 offset:1296
	ds_load_b128 v[76:79], v255 offset:2592
	ds_load_b128 v[84:87], v255 offset:3888
	ds_load_b128 v[92:95], v255 offset:5184
	ds_load_b128 v[100:103], v255 offset:6480
	ds_load_b128 v[112:115], v255 offset:7776
	ds_load_b128 v[120:123], v255 offset:9072
	ds_load_b128 v[132:135], v255 offset:10368
	ds_load_b128 v[128:131], v255 offset:11664
	ds_load_b128 v[124:127], v255 offset:12960
	ds_load_b128 v[116:119], v255 offset:14256
	ds_load_b128 v[108:111], v255 offset:15552
	ds_load_b128 v[104:107], v255 offset:16848
	ds_load_b128 v[96:99], v255 offset:18144
	ds_load_b128 v[88:91], v255 offset:19440
	ds_load_b128 v[80:83], v255 offset:20736
	s_load_b64 s[0:1], s[0:1], 0x8
                                        ; implicit-def: $vgpr8_vgpr9
                                        ; implicit-def: $vgpr20_vgpr21
                                        ; implicit-def: $vgpr24_vgpr25
                                        ; implicit-def: $vgpr28_vgpr29
                                        ; implicit-def: $vgpr32_vgpr33
                                        ; implicit-def: $vgpr36_vgpr37
                                        ; implicit-def: $vgpr40_vgpr41
                                        ; implicit-def: $vgpr44_vgpr45
                                        ; implicit-def: $vgpr52_vgpr53
                                        ; implicit-def: $vgpr0_vgpr1
                                        ; implicit-def: $vgpr4_vgpr5
                                        ; implicit-def: $vgpr56_vgpr57
                                        ; implicit-def: $vgpr48_vgpr49
                                        ; implicit-def: $vgpr16_vgpr17
                                        ; implicit-def: $vgpr12_vgpr13
                                        ; implicit-def: $vgpr60_vgpr61
                                        ; implicit-def: $vgpr64_vgpr65
	s_and_saveexec_b32 s2, vcc_lo
	s_cbranch_execz .LBB0_5
; %bb.4:
	ds_load_b128 v[8:11], v255 offset:816
	ds_load_b128 v[20:23], v255 offset:2112
	ds_load_b128 v[24:27], v255 offset:3408
	ds_load_b128 v[28:31], v255 offset:4704
	ds_load_b128 v[32:35], v255 offset:6000
	ds_load_b128 v[36:39], v255 offset:7296
	ds_load_b128 v[40:43], v255 offset:8592
	ds_load_b128 v[44:47], v255 offset:9888
	ds_load_b128 v[52:55], v255 offset:11184
	ds_load_b128 v[0:3], v255 offset:12480
	ds_load_b128 v[4:7], v255 offset:13776
	ds_load_b128 v[56:59], v255 offset:15072
	ds_load_b128 v[48:51], v255 offset:16368
	ds_load_b128 v[16:19], v255 offset:17664
	ds_load_b128 v[12:15], v255 offset:18960
	ds_load_b128 v[60:63], v255 offset:20256
	ds_load_b128 v[64:67], v255 offset:21552
.LBB0_5:
	s_wait_alu 0xfffe
	s_or_b32 exec_lo, exec_lo, s2
	s_wait_dscnt 0xf
	v_add_f64_e32 v[136:137], v[68:69], v[72:73]
	v_add_f64_e32 v[138:139], v[70:71], v[74:75]
	s_wait_dscnt 0x7
	v_add_f64_e64 v[142:143], v[134:135], -v[130:131]
	v_add_f64_e64 v[140:141], v[132:133], -v[128:129]
	s_wait_dscnt 0x6
	v_add_f64_e64 v[156:157], v[120:121], -v[124:125]
	v_add_f64_e64 v[158:159], v[122:123], -v[126:127]
	s_wait_dscnt 0x5
	v_add_f64_e64 v[164:165], v[112:113], -v[116:117]
	v_add_f64_e64 v[166:167], v[114:115], -v[118:119]
	s_wait_dscnt 0x4
	v_add_f64_e32 v[144:145], v[100:101], v[108:109]
	v_add_f64_e32 v[146:147], v[102:103], v[110:111]
	v_add_f64_e64 v[168:169], v[100:101], -v[108:109]
	v_add_f64_e64 v[170:171], v[102:103], -v[110:111]
	s_wait_dscnt 0x3
	v_add_f64_e32 v[148:149], v[92:93], v[104:105]
	v_add_f64_e32 v[150:151], v[94:95], v[106:107]
	v_add_f64_e64 v[172:173], v[92:93], -v[104:105]
	v_add_f64_e64 v[174:175], v[94:95], -v[106:107]
	;; [unrolled: 5-line block ×4, first 2 shown]
	s_mov_b32 s36, 0x5d8e7cdc
	s_mov_b32 s38, 0x2a9d6da3
	;; [unrolled: 1-line block ×14, first 2 shown]
	v_add_f64_e32 v[136:137], v[136:137], v[76:77]
	v_add_f64_e32 v[138:139], v[138:139], v[78:79]
	s_mov_b32 s35, 0xbfe0d888
	s_mov_b32 s43, 0xbfc7851a
	;; [unrolled: 1-line block ×34, first 2 shown]
	v_add_f64_e64 v[239:240], v[24:25], -v[60:61]
	v_add_f64_e64 v[247:248], v[28:29], -v[12:13]
	v_add_f64_e32 v[136:137], v[136:137], v[84:85]
	v_add_f64_e32 v[138:139], v[138:139], v[86:87]
	v_add_f64_e64 v[251:252], v[32:33], -v[16:17]
	v_add_f64_e32 v[236:237], v[54:55], v[2:3]
	scratch_store_b128 off, v[60:63], off offset:404 ; 16-byte Folded Spill
	v_add_f64_e32 v[136:137], v[136:137], v[92:93]
	v_add_f64_e32 v[138:139], v[138:139], v[94:95]
	v_mul_f64_e32 v[233:234], s[34:35], v[251:252]
	s_delay_alu instid0(VALU_DEP_3) | instskip(NEXT) | instid1(VALU_DEP_3)
	v_add_f64_e32 v[136:137], v[136:137], v[100:101]
	v_add_f64_e32 v[138:139], v[138:139], v[102:103]
	s_delay_alu instid0(VALU_DEP_2) | instskip(NEXT) | instid1(VALU_DEP_2)
	v_add_f64_e32 v[136:137], v[136:137], v[112:113]
	v_add_f64_e32 v[138:139], v[138:139], v[114:115]
	s_delay_alu instid0(VALU_DEP_2) | instskip(NEXT) | instid1(VALU_DEP_2)
	;; [unrolled: 3-line block ×3, first 2 shown]
	v_add_f64_e32 v[136:137], v[136:137], v[132:133]
	v_add_f64_e32 v[138:139], v[138:139], v[134:135]
	v_add_f64_e32 v[132:133], v[132:133], v[128:129]
	v_add_f64_e32 v[134:135], v[134:135], v[130:131]
	s_delay_alu instid0(VALU_DEP_4) | instskip(NEXT) | instid1(VALU_DEP_4)
	v_add_f64_e32 v[136:137], v[136:137], v[128:129]
	v_add_f64_e32 v[138:139], v[138:139], v[130:131]
	v_add_f64_e32 v[128:129], v[120:121], v[124:125]
	v_add_f64_e32 v[130:131], v[122:123], v[126:127]
	s_delay_alu instid0(VALU_DEP_4) | instskip(NEXT) | instid1(VALU_DEP_4)
	;; [unrolled: 5-line block ×3, first 2 shown]
	v_add_f64_e32 v[112:113], v[120:121], v[116:117]
	v_add_f64_e32 v[114:115], v[122:123], v[118:119]
	s_delay_alu instid0(VALU_DEP_2) | instskip(NEXT) | instid1(VALU_DEP_2)
	v_add_f64_e32 v[100:101], v[112:113], v[108:109]
	v_add_f64_e32 v[102:103], v[114:115], v[110:111]
	s_delay_alu instid0(VALU_DEP_2) | instskip(NEXT) | instid1(VALU_DEP_2)
	;; [unrolled: 3-line block ×4, first 2 shown]
	v_add_f64_e32 v[76:77], v[84:85], v[88:89]
	v_add_f64_e32 v[78:79], v[86:87], v[90:91]
	s_wait_dscnt 0x0
	v_add_f64_e64 v[84:85], v[74:75], -v[82:83]
	v_add_f64_e64 v[90:91], v[72:73], -v[80:81]
	v_add_f64_e32 v[86:87], v[72:73], v[80:81]
	v_add_f64_e32 v[88:89], v[74:75], v[82:83]
	;; [unrolled: 1-line block ×4, first 2 shown]
	v_mul_f64_e32 v[76:77], s[36:37], v[84:85]
	v_mul_f64_e32 v[78:79], s[38:39], v[84:85]
	;; [unrolled: 1-line block ×14, first 2 shown]
	s_wait_alu 0xfffe
	v_fma_f64 v[98:99], v[86:87], s[14:15], -v[76:77]
	v_fma_f64 v[76:77], v[86:87], s[14:15], v[76:77]
	v_fma_f64 v[100:101], v[86:87], s[18:19], -v[78:79]
	v_fma_f64 v[78:79], v[86:87], s[18:19], v[78:79]
	;; [unrolled: 2-line block ×8, first 2 shown]
	v_mul_f64_e32 v[86:87], s[36:37], v[90:91]
	v_mul_f64_e32 v[90:91], s[42:43], v[90:91]
	v_fma_f64 v[126:127], v[88:89], s[18:19], v[108:109]
	v_fma_f64 v[108:109], v[88:89], s[18:19], -v[108:109]
	v_fma_f64 v[186:187], v[88:89], s[24:25], v[110:111]
	v_fma_f64 v[110:111], v[88:89], s[24:25], -v[110:111]
	;; [unrolled: 2-line block ×3, first 2 shown]
	v_fma_f64 v[190:191], v[88:89], s[28:29], v[116:117]
	v_fma_f64 v[192:193], v[88:89], s[22:23], v[118:119]
	v_fma_f64 v[116:117], v[88:89], s[28:29], -v[116:117]
	v_fma_f64 v[194:195], v[88:89], s[22:23], -v[118:119]
	v_fma_f64 v[196:197], v[88:89], s[16:17], v[122:123]
	v_fma_f64 v[198:199], v[88:89], s[16:17], -v[122:123]
	v_add_f64_e32 v[202:203], v[68:69], v[76:77]
	v_add_f64_e32 v[204:205], v[68:69], v[100:101]
	;; [unrolled: 1-line block ×7, first 2 shown]
	v_mul_f64_e32 v[80:81], s[38:39], v[180:181]
	v_mul_f64_e32 v[82:83], s[40:41], v[178:179]
	v_add_f64_e32 v[118:119], v[68:69], v[94:95]
	v_add_f64_e32 v[122:123], v[68:69], v[120:121]
	v_mul_f64_e32 v[94:95], s[26:27], v[168:169]
	v_fma_f64 v[124:125], v[88:89], s[14:15], v[86:87]
	v_fma_f64 v[86:87], v[88:89], s[14:15], -v[86:87]
	v_fma_f64 v[200:201], v[88:89], s[8:9], v[90:91]
	v_fma_f64 v[88:89], v[88:89], s[8:9], -v[90:91]
	v_add_f64_e32 v[90:91], v[68:69], v[98:99]
	v_add_f64_e32 v[206:207], v[70:71], v[126:127]
	;; [unrolled: 1-line block ×13, first 2 shown]
	v_mul_f64_e32 v[68:69], s[38:39], v[182:183]
	v_add_f64_e32 v[214:215], v[70:71], v[186:187]
	v_add_f64_e32 v[222:223], v[70:71], v[188:189]
	;; [unrolled: 1-line block ×5, first 2 shown]
	v_mul_f64_e32 v[84:85], s[40:41], v[176:177]
	v_mul_f64_e32 v[92:93], s[26:27], v[170:171]
	;; [unrolled: 1-line block ×5, first 2 shown]
	v_fma_f64 v[76:77], v[162:163], s[18:19], v[80:81]
	v_fma_f64 v[78:79], v[152:153], s[24:25], -v[82:83]
	v_fma_f64 v[80:81], v[162:163], s[18:19], -v[80:81]
	v_fma_f64 v[82:83], v[152:153], s[24:25], v[82:83]
	v_add_f64_e32 v[98:99], v[70:71], v[124:125]
	v_add_f64_e32 v[86:87], v[70:71], v[86:87]
	;; [unrolled: 1-line block ×5, first 2 shown]
	v_mul_f64_e32 v[88:89], s[20:21], v[174:175]
	v_mul_f64_e32 v[197:198], s[42:43], v[142:143]
	v_fma_f64 v[70:71], v[160:161], s[18:19], -v[68:69]
	v_fma_f64 v[68:69], v[160:161], s[18:19], v[68:69]
	v_add_f64_e32 v[76:77], v[76:77], v[98:99]
	v_add_f64_e32 v[80:81], v[80:81], v[86:87]
	v_mul_f64_e32 v[98:99], s[30:31], v[164:165]
	v_add_f64_e32 v[70:71], v[70:71], v[90:91]
	v_mul_f64_e32 v[90:91], s[20:21], v[172:173]
	;; [unrolled: 2-line block ×3, first 2 shown]
	s_delay_alu instid0(VALU_DEP_4) | instskip(SKIP_1) | instid1(VALU_DEP_4)
	v_add_f64_e32 v[70:71], v[78:79], v[70:71]
	v_fma_f64 v[78:79], v[154:155], s[24:25], v[84:85]
	v_add_f64_e32 v[68:69], v[82:83], v[68:69]
	v_fma_f64 v[82:83], v[154:155], s[24:25], -v[84:85]
	s_delay_alu instid0(VALU_DEP_3) | instskip(SKIP_1) | instid1(VALU_DEP_3)
	v_add_f64_e32 v[76:77], v[78:79], v[76:77]
	v_fma_f64 v[78:79], v[148:149], s[2:3], -v[88:89]
	v_add_f64_e32 v[80:81], v[82:83], v[80:81]
	v_fma_f64 v[82:83], v[148:149], s[2:3], v[88:89]
	v_mul_f64_e32 v[88:89], s[20:21], v[180:181]
	s_delay_alu instid0(VALU_DEP_4) | instskip(SKIP_1) | instid1(VALU_DEP_4)
	v_add_f64_e32 v[70:71], v[78:79], v[70:71]
	v_fma_f64 v[78:79], v[150:151], s[2:3], v[90:91]
	v_add_f64_e32 v[68:69], v[82:83], v[68:69]
	v_fma_f64 v[82:83], v[150:151], s[2:3], -v[90:91]
	v_mul_f64_e32 v[90:91], s[30:31], v[178:179]
	v_fma_f64 v[84:85], v[162:163], s[2:3], v[88:89]
	v_fma_f64 v[88:89], v[162:163], s[2:3], -v[88:89]
	v_add_f64_e32 v[76:77], v[78:79], v[76:77]
	v_fma_f64 v[78:79], v[144:145], s[28:29], -v[92:93]
	v_add_f64_e32 v[80:81], v[82:83], v[80:81]
	v_fma_f64 v[82:83], v[144:145], s[28:29], v[92:93]
	v_fma_f64 v[86:87], v[152:153], s[22:23], -v[90:91]
	v_mul_f64_e32 v[92:93], s[30:31], v[176:177]
	v_add_f64_e32 v[84:85], v[84:85], v[206:207]
	v_fma_f64 v[90:91], v[152:153], s[22:23], v[90:91]
	v_add_f64_e32 v[88:89], v[88:89], v[210:211]
	v_add_f64_e32 v[70:71], v[78:79], v[70:71]
	v_fma_f64 v[78:79], v[146:147], s[28:29], v[94:95]
	v_add_f64_e32 v[68:69], v[82:83], v[68:69]
	v_fma_f64 v[82:83], v[146:147], s[28:29], -v[94:95]
	v_mul_f64_e32 v[94:95], s[42:43], v[174:175]
	s_delay_alu instid0(VALU_DEP_4) | instskip(SKIP_1) | instid1(VALU_DEP_4)
	v_add_f64_e32 v[76:77], v[78:79], v[76:77]
	v_fma_f64 v[78:79], v[136:137], s[22:23], -v[96:97]
	v_add_f64_e32 v[80:81], v[82:83], v[80:81]
	v_fma_f64 v[82:83], v[136:137], s[22:23], v[96:97]
	v_mul_f64_e32 v[96:97], s[42:43], v[172:173]
	s_delay_alu instid0(VALU_DEP_4) | instskip(SKIP_1) | instid1(VALU_DEP_4)
	v_add_f64_e32 v[70:71], v[78:79], v[70:71]
	v_fma_f64 v[78:79], v[138:139], s[22:23], v[98:99]
	v_add_f64_e32 v[68:69], v[82:83], v[68:69]
	v_fma_f64 v[82:83], v[138:139], s[22:23], -v[98:99]
	v_mul_f64_e32 v[98:99], s[54:55], v[170:171]
	s_delay_alu instid0(VALU_DEP_4) | instskip(SKIP_1) | instid1(VALU_DEP_4)
	v_add_f64_e32 v[76:77], v[78:79], v[76:77]
	v_fma_f64 v[78:79], v[128:129], s[16:17], -v[193:194]
	v_add_f64_e32 v[80:81], v[82:83], v[80:81]
	v_fma_f64 v[82:83], v[128:129], s[16:17], v[193:194]
	v_mul_f64_e32 v[193:194], s[54:55], v[168:169]
	s_delay_alu instid0(VALU_DEP_4) | instskip(SKIP_1) | instid1(VALU_DEP_4)
	v_add_f64_e32 v[70:71], v[78:79], v[70:71]
	v_fma_f64 v[78:79], v[130:131], s[16:17], v[195:196]
	v_add_f64_e32 v[68:69], v[82:83], v[68:69]
	v_fma_f64 v[82:83], v[130:131], s[16:17], -v[195:196]
	v_mul_f64_e32 v[195:196], s[44:45], v[166:167]
	s_delay_alu instid0(VALU_DEP_4) | instskip(SKIP_1) | instid1(VALU_DEP_4)
	v_add_f64_e32 v[78:79], v[78:79], v[76:77]
	v_fma_f64 v[76:77], v[132:133], s[8:9], -v[197:198]
	v_add_f64_e32 v[80:81], v[82:83], v[80:81]
	v_fma_f64 v[82:83], v[132:133], s[8:9], v[197:198]
	v_mul_f64_e32 v[197:198], s[44:45], v[164:165]
	s_delay_alu instid0(VALU_DEP_4) | instskip(SKIP_1) | instid1(VALU_DEP_4)
	v_add_f64_e32 v[76:77], v[76:77], v[70:71]
	v_mul_f64_e32 v[70:71], s[42:43], v[140:141]
	v_add_f64_e32 v[68:69], v[82:83], v[68:69]
	s_delay_alu instid0(VALU_DEP_2) | instskip(SKIP_1) | instid1(VALU_DEP_2)
	v_fma_f64 v[199:200], v[134:135], s[8:9], v[70:71]
	v_fma_f64 v[70:71], v[134:135], s[8:9], -v[70:71]
	v_add_f64_e32 v[78:79], v[199:200], v[78:79]
	s_delay_alu instid0(VALU_DEP_2) | instskip(SKIP_2) | instid1(VALU_DEP_2)
	v_add_f64_e32 v[70:71], v[70:71], v[80:81]
	v_mul_f64_e32 v[80:81], s[20:21], v[182:183]
	v_mul_f64_e32 v[199:200], s[46:47], v[158:159]
	v_fma_f64 v[82:83], v[160:161], s[2:3], -v[80:81]
	v_fma_f64 v[80:81], v[160:161], s[2:3], v[80:81]
	s_delay_alu instid0(VALU_DEP_2) | instskip(NEXT) | instid1(VALU_DEP_2)
	v_add_f64_e32 v[82:83], v[82:83], v[204:205]
	v_add_f64_e32 v[80:81], v[80:81], v[208:209]
	v_mul_f64_e32 v[203:204], s[48:49], v[142:143]
	v_mul_f64_e32 v[207:208], s[20:21], v[158:159]
	;; [unrolled: 1-line block ×3, first 2 shown]
	v_add_f64_e32 v[82:83], v[86:87], v[82:83]
	v_fma_f64 v[86:87], v[154:155], s[22:23], v[92:93]
	v_add_f64_e32 v[80:81], v[90:91], v[80:81]
	v_fma_f64 v[90:91], v[154:155], s[22:23], -v[92:93]
	s_delay_alu instid0(VALU_DEP_3) | instskip(SKIP_1) | instid1(VALU_DEP_3)
	v_add_f64_e32 v[84:85], v[86:87], v[84:85]
	v_fma_f64 v[86:87], v[148:149], s[8:9], -v[94:95]
	v_add_f64_e32 v[88:89], v[90:91], v[88:89]
	v_fma_f64 v[90:91], v[148:149], s[8:9], v[94:95]
	s_delay_alu instid0(VALU_DEP_3) | instskip(SKIP_1) | instid1(VALU_DEP_3)
	v_add_f64_e32 v[82:83], v[86:87], v[82:83]
	v_fma_f64 v[86:87], v[150:151], s[8:9], v[96:97]
	v_add_f64_e32 v[80:81], v[90:91], v[80:81]
	v_fma_f64 v[90:91], v[150:151], s[8:9], -v[96:97]
	v_mul_f64_e32 v[96:97], s[30:31], v[180:181]
	s_delay_alu instid0(VALU_DEP_4) | instskip(SKIP_1) | instid1(VALU_DEP_4)
	v_add_f64_e32 v[84:85], v[86:87], v[84:85]
	v_fma_f64 v[86:87], v[144:145], s[16:17], -v[98:99]
	v_add_f64_e32 v[88:89], v[90:91], v[88:89]
	v_fma_f64 v[90:91], v[144:145], s[16:17], v[98:99]
	v_mul_f64_e32 v[98:99], s[56:57], v[178:179]
	v_fma_f64 v[92:93], v[162:163], s[22:23], v[96:97]
	v_fma_f64 v[96:97], v[162:163], s[22:23], -v[96:97]
	v_add_f64_e32 v[82:83], v[86:87], v[82:83]
	v_fma_f64 v[86:87], v[146:147], s[16:17], v[193:194]
	v_add_f64_e32 v[80:81], v[90:91], v[80:81]
	v_fma_f64 v[90:91], v[146:147], s[16:17], -v[193:194]
	v_fma_f64 v[94:95], v[152:153], s[8:9], -v[98:99]
	v_mul_f64_e32 v[193:194], s[56:57], v[176:177]
	v_add_f64_e32 v[92:93], v[92:93], v[214:215]
	v_fma_f64 v[98:99], v[152:153], s[8:9], v[98:99]
	v_add_f64_e32 v[96:97], v[96:97], v[218:219]
	v_add_f64_e32 v[84:85], v[86:87], v[84:85]
	v_fma_f64 v[86:87], v[136:137], s[28:29], -v[195:196]
	v_add_f64_e32 v[88:89], v[90:91], v[88:89]
	v_fma_f64 v[90:91], v[136:137], s[28:29], v[195:196]
	v_mul_f64_e32 v[195:196], s[44:45], v[174:175]
	s_delay_alu instid0(VALU_DEP_4) | instskip(SKIP_1) | instid1(VALU_DEP_4)
	v_add_f64_e32 v[82:83], v[86:87], v[82:83]
	v_fma_f64 v[86:87], v[138:139], s[28:29], v[197:198]
	v_add_f64_e32 v[80:81], v[90:91], v[80:81]
	v_fma_f64 v[90:91], v[138:139], s[28:29], -v[197:198]
	v_mul_f64_e32 v[197:198], s[44:45], v[172:173]
	s_delay_alu instid0(VALU_DEP_4) | instskip(SKIP_1) | instid1(VALU_DEP_4)
	v_add_f64_e32 v[84:85], v[86:87], v[84:85]
	v_fma_f64 v[86:87], v[128:129], s[24:25], -v[199:200]
	v_add_f64_e32 v[88:89], v[90:91], v[88:89]
	v_fma_f64 v[90:91], v[128:129], s[24:25], v[199:200]
	v_mul_f64_e32 v[199:200], s[50:51], v[170:171]
	s_delay_alu instid0(VALU_DEP_4) | instskip(SKIP_1) | instid1(VALU_DEP_4)
	v_add_f64_e32 v[82:83], v[86:87], v[82:83]
	v_fma_f64 v[86:87], v[130:131], s[24:25], v[201:202]
	v_add_f64_e32 v[80:81], v[90:91], v[80:81]
	v_fma_f64 v[90:91], v[130:131], s[24:25], -v[201:202]
	v_mul_f64_e32 v[201:202], s[50:51], v[168:169]
	s_delay_alu instid0(VALU_DEP_4) | instskip(SKIP_1) | instid1(VALU_DEP_4)
	v_add_f64_e32 v[86:87], v[86:87], v[84:85]
	v_fma_f64 v[84:85], v[132:133], s[14:15], -v[203:204]
	v_add_f64_e32 v[88:89], v[90:91], v[88:89]
	v_fma_f64 v[90:91], v[132:133], s[14:15], v[203:204]
	v_mul_f64_e32 v[203:204], s[36:37], v[166:167]
	s_delay_alu instid0(VALU_DEP_4) | instskip(SKIP_1) | instid1(VALU_DEP_4)
	v_add_f64_e32 v[84:85], v[84:85], v[82:83]
	v_mul_f64_e32 v[82:83], s[48:49], v[140:141]
	v_add_f64_e32 v[80:81], v[90:91], v[80:81]
	s_delay_alu instid0(VALU_DEP_2) | instskip(SKIP_1) | instid1(VALU_DEP_2)
	v_fma_f64 v[205:206], v[134:135], s[14:15], v[82:83]
	v_fma_f64 v[82:83], v[134:135], s[14:15], -v[82:83]
	v_add_f64_e32 v[86:87], v[205:206], v[86:87]
	s_delay_alu instid0(VALU_DEP_2) | instskip(SKIP_2) | instid1(VALU_DEP_2)
	v_add_f64_e32 v[82:83], v[82:83], v[88:89]
	v_mul_f64_e32 v[88:89], s[30:31], v[182:183]
	v_mul_f64_e32 v[205:206], s[36:37], v[164:165]
	v_fma_f64 v[90:91], v[160:161], s[22:23], -v[88:89]
	v_fma_f64 v[88:89], v[160:161], s[22:23], v[88:89]
	s_delay_alu instid0(VALU_DEP_2) | instskip(NEXT) | instid1(VALU_DEP_2)
	v_add_f64_e32 v[90:91], v[90:91], v[212:213]
	v_add_f64_e32 v[88:89], v[88:89], v[216:217]
	v_mul_f64_e32 v[211:212], s[34:35], v[142:143]
	s_delay_alu instid0(VALU_DEP_3) | instskip(SKIP_1) | instid1(VALU_DEP_4)
	v_add_f64_e32 v[90:91], v[94:95], v[90:91]
	v_fma_f64 v[94:95], v[154:155], s[8:9], v[193:194]
	v_add_f64_e32 v[88:89], v[98:99], v[88:89]
	v_fma_f64 v[98:99], v[154:155], s[8:9], -v[193:194]
	v_mul_f64_e32 v[193:194], s[42:43], v[182:183]
	s_delay_alu instid0(VALU_DEP_4) | instskip(SKIP_1) | instid1(VALU_DEP_4)
	v_add_f64_e32 v[92:93], v[94:95], v[92:93]
	v_fma_f64 v[94:95], v[148:149], s[28:29], -v[195:196]
	v_add_f64_e32 v[96:97], v[98:99], v[96:97]
	v_fma_f64 v[98:99], v[148:149], s[28:29], v[195:196]
	v_mul_f64_e32 v[195:196], s[42:43], v[180:181]
	s_delay_alu instid0(VALU_DEP_4) | instskip(SKIP_1) | instid1(VALU_DEP_4)
	v_add_f64_e32 v[90:91], v[94:95], v[90:91]
	v_fma_f64 v[94:95], v[150:151], s[28:29], v[197:198]
	v_add_f64_e32 v[88:89], v[98:99], v[88:89]
	v_fma_f64 v[98:99], v[150:151], s[28:29], -v[197:198]
	v_mul_f64_e32 v[197:198], s[44:45], v[178:179]
	s_delay_alu instid0(VALU_DEP_4) | instskip(SKIP_1) | instid1(VALU_DEP_4)
	v_add_f64_e32 v[92:93], v[94:95], v[92:93]
	v_fma_f64 v[94:95], v[144:145], s[18:19], -v[199:200]
	v_add_f64_e32 v[96:97], v[98:99], v[96:97]
	v_fma_f64 v[98:99], v[144:145], s[18:19], v[199:200]
	v_fma_f64 v[199:200], v[152:153], s[28:29], -v[197:198]
	s_delay_alu instid0(VALU_DEP_4) | instskip(SKIP_1) | instid1(VALU_DEP_4)
	v_add_f64_e32 v[90:91], v[94:95], v[90:91]
	v_fma_f64 v[94:95], v[146:147], s[18:19], v[201:202]
	v_add_f64_e32 v[88:89], v[98:99], v[88:89]
	v_fma_f64 v[98:99], v[146:147], s[18:19], -v[201:202]
	s_delay_alu instid0(VALU_DEP_3) | instskip(SKIP_1) | instid1(VALU_DEP_3)
	v_add_f64_e32 v[92:93], v[94:95], v[92:93]
	v_fma_f64 v[94:95], v[136:137], s[14:15], -v[203:204]
	v_add_f64_e32 v[96:97], v[98:99], v[96:97]
	v_fma_f64 v[98:99], v[136:137], s[14:15], v[203:204]
	s_delay_alu instid0(VALU_DEP_3) | instskip(SKIP_1) | instid1(VALU_DEP_3)
	v_add_f64_e32 v[90:91], v[94:95], v[90:91]
	v_fma_f64 v[94:95], v[138:139], s[14:15], v[205:206]
	v_add_f64_e32 v[88:89], v[98:99], v[88:89]
	v_fma_f64 v[98:99], v[138:139], s[14:15], -v[205:206]
	s_delay_alu instid0(VALU_DEP_3) | instskip(SKIP_1) | instid1(VALU_DEP_3)
	v_add_f64_e32 v[92:93], v[94:95], v[92:93]
	v_fma_f64 v[94:95], v[128:129], s[2:3], -v[207:208]
	v_add_f64_e32 v[96:97], v[98:99], v[96:97]
	v_fma_f64 v[98:99], v[128:129], s[2:3], v[207:208]
	s_delay_alu instid0(VALU_DEP_3) | instskip(SKIP_1) | instid1(VALU_DEP_3)
	;; [unrolled: 10-line block ×3, first 2 shown]
	v_add_f64_e32 v[92:93], v[92:93], v[90:91]
	v_mul_f64_e32 v[90:91], s[34:35], v[140:141]
	v_add_f64_e32 v[88:89], v[98:99], v[88:89]
	v_fma_f64 v[98:99], v[162:163], s[8:9], v[195:196]
	s_delay_alu instid0(VALU_DEP_3) | instskip(SKIP_1) | instid1(VALU_DEP_3)
	v_fma_f64 v[213:214], v[134:135], s[16:17], v[90:91]
	v_fma_f64 v[90:91], v[134:135], s[16:17], -v[90:91]
	v_add_f64_e32 v[98:99], v[98:99], v[222:223]
	s_delay_alu instid0(VALU_DEP_3) | instskip(NEXT) | instid1(VALU_DEP_3)
	v_add_f64_e32 v[94:95], v[213:214], v[94:95]
	v_add_f64_e32 v[90:91], v[90:91], v[96:97]
	v_fma_f64 v[96:97], v[160:161], s[8:9], -v[193:194]
	v_fma_f64 v[193:194], v[160:161], s[8:9], v[193:194]
	s_delay_alu instid0(VALU_DEP_2) | instskip(NEXT) | instid1(VALU_DEP_2)
	v_add_f64_e32 v[96:97], v[96:97], v[220:221]
	v_add_f64_e32 v[102:103], v[193:194], v[102:103]
	v_fma_f64 v[193:194], v[162:163], s[8:9], -v[195:196]
	s_delay_alu instid0(VALU_DEP_3) | instskip(SKIP_1) | instid1(VALU_DEP_3)
	v_add_f64_e32 v[96:97], v[199:200], v[96:97]
	v_mul_f64_e32 v[199:200], s[44:45], v[176:177]
	v_add_f64_e32 v[100:101], v[193:194], v[100:101]
	v_fma_f64 v[193:194], v[152:153], s[28:29], v[197:198]
	s_delay_alu instid0(VALU_DEP_3) | instskip(NEXT) | instid1(VALU_DEP_2)
	v_fma_f64 v[201:202], v[154:155], s[28:29], v[199:200]
	v_add_f64_e32 v[102:103], v[193:194], v[102:103]
	v_fma_f64 v[193:194], v[154:155], s[28:29], -v[199:200]
	s_delay_alu instid0(VALU_DEP_3) | instskip(SKIP_1) | instid1(VALU_DEP_3)
	v_add_f64_e32 v[98:99], v[201:202], v[98:99]
	v_mul_f64_e32 v[201:202], s[48:49], v[174:175]
	v_add_f64_e32 v[100:101], v[193:194], v[100:101]
	s_delay_alu instid0(VALU_DEP_2) | instskip(SKIP_1) | instid1(VALU_DEP_2)
	v_fma_f64 v[203:204], v[148:149], s[14:15], -v[201:202]
	v_fma_f64 v[193:194], v[148:149], s[14:15], v[201:202]
	v_add_f64_e32 v[96:97], v[203:204], v[96:97]
	v_mul_f64_e32 v[203:204], s[48:49], v[172:173]
	s_delay_alu instid0(VALU_DEP_3) | instskip(NEXT) | instid1(VALU_DEP_2)
	v_add_f64_e32 v[102:103], v[193:194], v[102:103]
	v_fma_f64 v[205:206], v[150:151], s[14:15], v[203:204]
	v_fma_f64 v[193:194], v[150:151], s[14:15], -v[203:204]
	s_delay_alu instid0(VALU_DEP_2) | instskip(SKIP_1) | instid1(VALU_DEP_3)
	v_add_f64_e32 v[98:99], v[205:206], v[98:99]
	v_mul_f64_e32 v[205:206], s[40:41], v[170:171]
	v_add_f64_e32 v[100:101], v[193:194], v[100:101]
	s_delay_alu instid0(VALU_DEP_2) | instskip(SKIP_1) | instid1(VALU_DEP_2)
	v_fma_f64 v[207:208], v[144:145], s[24:25], -v[205:206]
	v_fma_f64 v[193:194], v[144:145], s[24:25], v[205:206]
	v_add_f64_e32 v[96:97], v[207:208], v[96:97]
	v_mul_f64_e32 v[207:208], s[40:41], v[168:169]
	s_delay_alu instid0(VALU_DEP_3) | instskip(NEXT) | instid1(VALU_DEP_2)
	v_add_f64_e32 v[102:103], v[193:194], v[102:103]
	v_fma_f64 v[209:210], v[146:147], s[24:25], v[207:208]
	v_fma_f64 v[193:194], v[146:147], s[24:25], -v[207:208]
	s_delay_alu instid0(VALU_DEP_2) | instskip(SKIP_1) | instid1(VALU_DEP_3)
	;; [unrolled: 13-line block ×4, first 2 shown]
	v_add_f64_e32 v[98:99], v[217:218], v[98:99]
	v_mul_f64_e32 v[217:218], s[50:51], v[142:143]
	v_add_f64_e32 v[193:194], v[193:194], v[100:101]
	s_delay_alu instid0(VALU_DEP_2) | instskip(SKIP_1) | instid1(VALU_DEP_2)
	v_fma_f64 v[219:220], v[132:133], s[18:19], -v[217:218]
	v_fma_f64 v[100:101], v[132:133], s[18:19], v[217:218]
	v_add_f64_e32 v[96:97], v[219:220], v[96:97]
	v_mul_f64_e32 v[219:220], s[50:51], v[140:141]
	s_delay_alu instid0(VALU_DEP_3) | instskip(NEXT) | instid1(VALU_DEP_2)
	v_add_f64_e32 v[100:101], v[100:101], v[102:103]
	v_fma_f64 v[195:196], v[134:135], s[18:19], -v[219:220]
	v_fma_f64 v[221:222], v[134:135], s[18:19], v[219:220]
	v_mul_f64_e32 v[219:220], s[30:31], v[142:143]
	s_delay_alu instid0(VALU_DEP_3) | instskip(SKIP_1) | instid1(VALU_DEP_4)
	v_add_f64_e32 v[102:103], v[195:196], v[193:194]
	v_mul_f64_e32 v[193:194], s[54:55], v[182:183]
	v_add_f64_e32 v[98:99], v[221:222], v[98:99]
	v_mul_f64_e32 v[221:222], s[30:31], v[140:141]
	s_delay_alu instid0(VALU_DEP_3) | instskip(SKIP_1) | instid1(VALU_DEP_2)
	v_fma_f64 v[195:196], v[160:161], s[16:17], -v[193:194]
	v_fma_f64 v[193:194], v[160:161], s[16:17], v[193:194]
	v_add_f64_e32 v[110:111], v[195:196], v[110:111]
	v_mul_f64_e32 v[195:196], s[54:55], v[180:181]
	s_delay_alu instid0(VALU_DEP_3) | instskip(NEXT) | instid1(VALU_DEP_2)
	v_add_f64_e32 v[106:107], v[193:194], v[106:107]
	v_fma_f64 v[197:198], v[162:163], s[16:17], v[195:196]
	v_fma_f64 v[193:194], v[162:163], s[16:17], -v[195:196]
	v_fma_f64 v[195:196], v[134:135], s[22:23], -v[221:222]
	s_delay_alu instid0(VALU_DEP_3) | instskip(SKIP_1) | instid1(VALU_DEP_4)
	v_add_f64_e32 v[108:109], v[197:198], v[108:109]
	v_mul_f64_e32 v[197:198], s[50:51], v[178:179]
	v_add_f64_e32 v[104:105], v[193:194], v[104:105]
	s_delay_alu instid0(VALU_DEP_2) | instskip(SKIP_1) | instid1(VALU_DEP_2)
	v_fma_f64 v[199:200], v[152:153], s[18:19], -v[197:198]
	v_fma_f64 v[193:194], v[152:153], s[18:19], v[197:198]
	v_add_f64_e32 v[110:111], v[199:200], v[110:111]
	v_mul_f64_e32 v[199:200], s[50:51], v[176:177]
	s_delay_alu instid0(VALU_DEP_3) | instskip(NEXT) | instid1(VALU_DEP_2)
	v_add_f64_e32 v[106:107], v[193:194], v[106:107]
	v_fma_f64 v[201:202], v[154:155], s[18:19], v[199:200]
	v_fma_f64 v[193:194], v[154:155], s[18:19], -v[199:200]
	s_delay_alu instid0(VALU_DEP_2) | instskip(SKIP_1) | instid1(VALU_DEP_3)
	v_add_f64_e32 v[108:109], v[201:202], v[108:109]
	v_mul_f64_e32 v[201:202], s[40:41], v[174:175]
	v_add_f64_e32 v[104:105], v[193:194], v[104:105]
	s_delay_alu instid0(VALU_DEP_2) | instskip(SKIP_1) | instid1(VALU_DEP_2)
	v_fma_f64 v[203:204], v[148:149], s[24:25], -v[201:202]
	v_fma_f64 v[193:194], v[148:149], s[24:25], v[201:202]
	v_add_f64_e32 v[110:111], v[203:204], v[110:111]
	v_mul_f64_e32 v[203:204], s[40:41], v[172:173]
	s_delay_alu instid0(VALU_DEP_3) | instskip(NEXT) | instid1(VALU_DEP_2)
	v_add_f64_e32 v[106:107], v[193:194], v[106:107]
	v_fma_f64 v[205:206], v[150:151], s[24:25], v[203:204]
	v_fma_f64 v[193:194], v[150:151], s[24:25], -v[203:204]
	s_delay_alu instid0(VALU_DEP_2) | instskip(SKIP_1) | instid1(VALU_DEP_3)
	;; [unrolled: 13-line block ×4, first 2 shown]
	v_add_f64_e32 v[108:109], v[213:214], v[108:109]
	v_mul_f64_e32 v[213:214], s[36:37], v[158:159]
	v_add_f64_e32 v[104:105], v[193:194], v[104:105]
	s_delay_alu instid0(VALU_DEP_2) | instskip(SKIP_1) | instid1(VALU_DEP_2)
	v_fma_f64 v[215:216], v[128:129], s[14:15], -v[213:214]
	v_fma_f64 v[193:194], v[128:129], s[14:15], v[213:214]
	v_add_f64_e32 v[110:111], v[215:216], v[110:111]
	v_mul_f64_e32 v[215:216], s[36:37], v[156:157]
	s_delay_alu instid0(VALU_DEP_3) | instskip(NEXT) | instid1(VALU_DEP_2)
	v_add_f64_e32 v[106:107], v[193:194], v[106:107]
	v_fma_f64 v[193:194], v[130:131], s[14:15], -v[215:216]
	v_fma_f64 v[217:218], v[130:131], s[14:15], v[215:216]
	s_delay_alu instid0(VALU_DEP_2) | instskip(SKIP_1) | instid1(VALU_DEP_3)
	v_add_f64_e32 v[193:194], v[193:194], v[104:105]
	v_fma_f64 v[104:105], v[132:133], s[22:23], v[219:220]
	v_add_f64_e32 v[217:218], v[217:218], v[108:109]
	v_fma_f64 v[108:109], v[132:133], s[22:23], -v[219:220]
	v_mul_f64_e32 v[219:220], s[46:47], v[142:143]
	s_delay_alu instid0(VALU_DEP_4)
	v_add_f64_e32 v[104:105], v[104:105], v[106:107]
	v_add_f64_e32 v[106:107], v[195:196], v[193:194]
	v_mul_f64_e32 v[193:194], s[44:45], v[182:183]
	v_add_f64_e32 v[108:109], v[108:109], v[110:111]
	v_fma_f64 v[110:111], v[134:135], s[22:23], v[221:222]
	v_mul_f64_e32 v[221:222], s[46:47], v[140:141]
	s_delay_alu instid0(VALU_DEP_4) | instskip(SKIP_1) | instid1(VALU_DEP_4)
	v_fma_f64 v[195:196], v[160:161], s[28:29], -v[193:194]
	v_fma_f64 v[193:194], v[160:161], s[28:29], v[193:194]
	v_add_f64_e32 v[110:111], v[110:111], v[217:218]
	s_delay_alu instid0(VALU_DEP_3) | instskip(SKIP_1) | instid1(VALU_DEP_4)
	v_add_f64_e32 v[114:115], v[195:196], v[114:115]
	v_mul_f64_e32 v[195:196], s[44:45], v[180:181]
	v_add_f64_e32 v[118:119], v[193:194], v[118:119]
	s_delay_alu instid0(VALU_DEP_2) | instskip(SKIP_2) | instid1(VALU_DEP_3)
	v_fma_f64 v[197:198], v[162:163], s[28:29], v[195:196]
	v_fma_f64 v[193:194], v[162:163], s[28:29], -v[195:196]
	v_fma_f64 v[195:196], v[134:135], s[24:25], -v[221:222]
	v_add_f64_e32 v[112:113], v[197:198], v[112:113]
	v_mul_f64_e32 v[197:198], s[36:37], v[178:179]
	s_delay_alu instid0(VALU_DEP_4) | instskip(NEXT) | instid1(VALU_DEP_2)
	v_add_f64_e32 v[116:117], v[193:194], v[116:117]
	v_fma_f64 v[199:200], v[152:153], s[14:15], -v[197:198]
	v_fma_f64 v[193:194], v[152:153], s[14:15], v[197:198]
	s_delay_alu instid0(VALU_DEP_2) | instskip(SKIP_1) | instid1(VALU_DEP_3)
	v_add_f64_e32 v[114:115], v[199:200], v[114:115]
	v_mul_f64_e32 v[199:200], s[36:37], v[176:177]
	v_add_f64_e32 v[118:119], v[193:194], v[118:119]
	s_delay_alu instid0(VALU_DEP_2) | instskip(SKIP_1) | instid1(VALU_DEP_2)
	v_fma_f64 v[201:202], v[154:155], s[14:15], v[199:200]
	v_fma_f64 v[193:194], v[154:155], s[14:15], -v[199:200]
	v_add_f64_e32 v[112:113], v[201:202], v[112:113]
	v_mul_f64_e32 v[201:202], s[34:35], v[174:175]
	s_delay_alu instid0(VALU_DEP_3) | instskip(NEXT) | instid1(VALU_DEP_2)
	v_add_f64_e32 v[116:117], v[193:194], v[116:117]
	v_fma_f64 v[203:204], v[148:149], s[16:17], -v[201:202]
	v_fma_f64 v[193:194], v[148:149], s[16:17], v[201:202]
	s_delay_alu instid0(VALU_DEP_2) | instskip(SKIP_1) | instid1(VALU_DEP_3)
	v_add_f64_e32 v[114:115], v[203:204], v[114:115]
	v_mul_f64_e32 v[203:204], s[34:35], v[172:173]
	v_add_f64_e32 v[118:119], v[193:194], v[118:119]
	s_delay_alu instid0(VALU_DEP_2) | instskip(SKIP_1) | instid1(VALU_DEP_2)
	v_fma_f64 v[205:206], v[150:151], s[16:17], v[203:204]
	v_fma_f64 v[193:194], v[150:151], s[16:17], -v[203:204]
	v_add_f64_e32 v[112:113], v[205:206], v[112:113]
	v_mul_f64_e32 v[205:206], s[52:53], v[170:171]
	s_delay_alu instid0(VALU_DEP_3) | instskip(NEXT) | instid1(VALU_DEP_2)
	;; [unrolled: 13-line block ×4, first 2 shown]
	v_add_f64_e32 v[116:117], v[193:194], v[116:117]
	v_fma_f64 v[215:216], v[128:129], s[8:9], -v[213:214]
	v_fma_f64 v[193:194], v[128:129], s[8:9], v[213:214]
	s_delay_alu instid0(VALU_DEP_2) | instskip(SKIP_1) | instid1(VALU_DEP_3)
	v_add_f64_e32 v[114:115], v[215:216], v[114:115]
	v_mul_f64_e32 v[215:216], s[42:43], v[156:157]
	v_add_f64_e32 v[118:119], v[193:194], v[118:119]
	s_delay_alu instid0(VALU_DEP_2) | instskip(SKIP_1) | instid1(VALU_DEP_2)
	v_fma_f64 v[193:194], v[130:131], s[8:9], -v[215:216]
	v_fma_f64 v[217:218], v[130:131], s[8:9], v[215:216]
	v_add_f64_e32 v[193:194], v[193:194], v[116:117]
	v_fma_f64 v[116:117], v[132:133], s[24:25], v[219:220]
	s_delay_alu instid0(VALU_DEP_3)
	v_add_f64_e32 v[217:218], v[217:218], v[112:113]
	v_fma_f64 v[112:113], v[132:133], s[24:25], -v[219:220]
	v_mul_f64_e32 v[219:220], s[26:27], v[142:143]
	v_mul_f64_e32 v[142:143], s[52:53], v[142:143]
	v_add_f64_e32 v[116:117], v[116:117], v[118:119]
	v_add_f64_e32 v[118:119], v[195:196], v[193:194]
	v_mul_f64_e32 v[193:194], s[46:47], v[182:183]
	v_add_f64_e32 v[112:113], v[112:113], v[114:115]
	v_fma_f64 v[114:115], v[134:135], s[24:25], v[221:222]
	v_mul_f64_e32 v[221:222], s[26:27], v[140:141]
	v_mul_f64_e32 v[182:183], s[48:49], v[182:183]
	;; [unrolled: 1-line block ×3, first 2 shown]
	v_fma_f64 v[195:196], v[160:161], s[24:25], -v[193:194]
	v_fma_f64 v[193:194], v[160:161], s[24:25], v[193:194]
	v_add_f64_e32 v[114:115], v[114:115], v[217:218]
	s_delay_alu instid0(VALU_DEP_3) | instskip(SKIP_1) | instid1(VALU_DEP_4)
	v_add_f64_e32 v[122:123], v[195:196], v[122:123]
	v_mul_f64_e32 v[195:196], s[46:47], v[180:181]
	v_add_f64_e32 v[126:127], v[193:194], v[126:127]
	v_mul_f64_e32 v[180:181], s[48:49], v[180:181]
	s_delay_alu instid0(VALU_DEP_3) | instskip(SKIP_2) | instid1(VALU_DEP_3)
	v_fma_f64 v[197:198], v[162:163], s[24:25], v[195:196]
	v_fma_f64 v[193:194], v[162:163], s[24:25], -v[195:196]
	v_fma_f64 v[195:196], v[134:135], s[28:29], -v[221:222]
	v_add_f64_e32 v[120:121], v[197:198], v[120:121]
	v_mul_f64_e32 v[197:198], s[20:21], v[178:179]
	s_delay_alu instid0(VALU_DEP_4) | instskip(SKIP_1) | instid1(VALU_DEP_3)
	v_add_f64_e32 v[124:125], v[193:194], v[124:125]
	v_mul_f64_e32 v[178:179], s[34:35], v[178:179]
	v_fma_f64 v[199:200], v[152:153], s[2:3], -v[197:198]
	v_fma_f64 v[193:194], v[152:153], s[2:3], v[197:198]
	v_add_f64_e64 v[197:198], v[22:23], -v[66:67]
	s_delay_alu instid0(VALU_DEP_3) | instskip(SKIP_1) | instid1(VALU_DEP_4)
	v_add_f64_e32 v[122:123], v[199:200], v[122:123]
	v_mul_f64_e32 v[199:200], s[20:21], v[176:177]
	v_add_f64_e32 v[126:127], v[193:194], v[126:127]
	v_mul_f64_e32 v[176:177], s[34:35], v[176:177]
	s_delay_alu instid0(VALU_DEP_3) | instskip(SKIP_2) | instid1(VALU_DEP_3)
	v_fma_f64 v[201:202], v[154:155], s[2:3], v[199:200]
	v_fma_f64 v[193:194], v[154:155], s[2:3], -v[199:200]
	v_add_f64_e64 v[199:200], v[42:43], -v[58:59]
	v_add_f64_e32 v[120:121], v[201:202], v[120:121]
	v_mul_f64_e32 v[201:202], s[58:59], v[174:175]
	s_delay_alu instid0(VALU_DEP_4) | instskip(SKIP_2) | instid1(VALU_DEP_4)
	v_add_f64_e32 v[124:125], v[193:194], v[124:125]
	v_mul_f64_e32 v[174:175], s[50:51], v[174:175]
	v_mul_f64_e32 v[243:244], s[38:39], v[199:200]
	v_fma_f64 v[203:204], v[148:149], s[22:23], -v[201:202]
	v_fma_f64 v[193:194], v[148:149], s[22:23], v[201:202]
	v_add_f64_e32 v[201:202], v[38:39], v[50:51]
	s_delay_alu instid0(VALU_DEP_3) | instskip(SKIP_1) | instid1(VALU_DEP_4)
	v_add_f64_e32 v[122:123], v[203:204], v[122:123]
	v_mul_f64_e32 v[203:204], s[58:59], v[172:173]
	v_add_f64_e32 v[126:127], v[193:194], v[126:127]
	v_mul_f64_e32 v[172:173], s[50:51], v[172:173]
	s_delay_alu instid0(VALU_DEP_3) | instskip(SKIP_1) | instid1(VALU_DEP_2)
	v_fma_f64 v[205:206], v[150:151], s[22:23], v[203:204]
	v_fma_f64 v[193:194], v[150:151], s[22:23], -v[203:204]
	v_add_f64_e32 v[120:121], v[205:206], v[120:121]
	v_mul_f64_e32 v[205:206], s[36:37], v[170:171]
	s_delay_alu instid0(VALU_DEP_3) | instskip(SKIP_1) | instid1(VALU_DEP_3)
	v_add_f64_e32 v[124:125], v[193:194], v[124:125]
	v_mul_f64_e32 v[170:171], s[30:31], v[170:171]
	v_fma_f64 v[207:208], v[144:145], s[14:15], -v[205:206]
	v_fma_f64 v[193:194], v[144:145], s[14:15], v[205:206]
	v_add_f64_e32 v[205:206], v[42:43], v[58:59]
	s_delay_alu instid0(VALU_DEP_3) | instskip(SKIP_1) | instid1(VALU_DEP_4)
	v_add_f64_e32 v[122:123], v[207:208], v[122:123]
	v_mul_f64_e32 v[207:208], s[36:37], v[168:169]
	v_add_f64_e32 v[126:127], v[193:194], v[126:127]
	v_mul_f64_e32 v[168:169], s[30:31], v[168:169]
	s_delay_alu instid0(VALU_DEP_3) | instskip(SKIP_2) | instid1(VALU_DEP_3)
	v_fma_f64 v[209:210], v[146:147], s[14:15], v[207:208]
	v_fma_f64 v[193:194], v[146:147], s[14:15], -v[207:208]
	v_mul_f64_e32 v[207:208], s[30:31], v[197:198]
	v_add_f64_e32 v[120:121], v[209:210], v[120:121]
	v_mul_f64_e32 v[209:210], s[42:43], v[166:167]
	s_delay_alu instid0(VALU_DEP_4) | instskip(SKIP_1) | instid1(VALU_DEP_3)
	v_add_f64_e32 v[124:125], v[193:194], v[124:125]
	v_mul_f64_e32 v[166:167], s[46:47], v[166:167]
	v_fma_f64 v[211:212], v[136:137], s[8:9], -v[209:210]
	v_fma_f64 v[193:194], v[136:137], s[8:9], v[209:210]
	s_delay_alu instid0(VALU_DEP_2) | instskip(SKIP_1) | instid1(VALU_DEP_3)
	v_add_f64_e32 v[122:123], v[211:212], v[122:123]
	v_mul_f64_e32 v[211:212], s[42:43], v[164:165]
	v_add_f64_e32 v[126:127], v[193:194], v[126:127]
	v_mul_f64_e32 v[164:165], s[46:47], v[164:165]
	s_delay_alu instid0(VALU_DEP_3) | instskip(SKIP_2) | instid1(VALU_DEP_3)
	v_fma_f64 v[213:214], v[138:139], s[8:9], v[211:212]
	v_fma_f64 v[193:194], v[138:139], s[8:9], -v[211:212]
	v_add_f64_e32 v[211:212], v[22:23], v[66:67]
	v_add_f64_e32 v[120:121], v[213:214], v[120:121]
	v_mul_f64_e32 v[213:214], s[50:51], v[158:159]
	s_delay_alu instid0(VALU_DEP_4) | instskip(SKIP_1) | instid1(VALU_DEP_3)
	v_add_f64_e32 v[124:125], v[193:194], v[124:125]
	v_mul_f64_e32 v[158:159], s[26:27], v[158:159]
	v_fma_f64 v[215:216], v[128:129], s[18:19], -v[213:214]
	v_fma_f64 v[193:194], v[128:129], s[18:19], v[213:214]
	v_mul_f64_e32 v[213:214], s[34:35], v[197:198]
	s_delay_alu instid0(VALU_DEP_3) | instskip(SKIP_1) | instid1(VALU_DEP_4)
	v_add_f64_e32 v[122:123], v[215:216], v[122:123]
	v_mul_f64_e32 v[215:216], s[50:51], v[156:157]
	v_add_f64_e32 v[126:127], v[193:194], v[126:127]
	v_mul_f64_e32 v[156:157], s[26:27], v[156:157]
	s_delay_alu instid0(VALU_DEP_3) | instskip(SKIP_1) | instid1(VALU_DEP_2)
	v_fma_f64 v[193:194], v[130:131], s[18:19], -v[215:216]
	v_fma_f64 v[217:218], v[130:131], s[18:19], v[215:216]
	v_add_f64_e32 v[193:194], v[193:194], v[124:125]
	v_fma_f64 v[124:125], v[132:133], s[28:29], v[219:220]
	s_delay_alu instid0(VALU_DEP_3) | instskip(SKIP_1) | instid1(VALU_DEP_3)
	v_add_f64_e32 v[217:218], v[217:218], v[120:121]
	v_fma_f64 v[120:121], v[132:133], s[28:29], -v[219:220]
	v_add_f64_e32 v[124:125], v[124:125], v[126:127]
	v_add_f64_e32 v[126:127], v[195:196], v[193:194]
	v_fma_f64 v[193:194], v[160:161], s[14:15], -v[182:183]
	v_fma_f64 v[160:161], v[160:161], s[14:15], v[182:183]
	v_add_f64_e32 v[120:121], v[120:121], v[122:123]
	v_fma_f64 v[122:123], v[134:135], s[28:29], v[221:222]
	v_add_f64_e64 v[221:222], v[20:21], -v[64:65]
	v_add_f64_e32 v[182:183], v[30:31], v[14:15]
	v_add_f64_e32 v[195:196], v[40:41], v[56:57]
	;; [unrolled: 1-line block ×3, first 2 shown]
	v_fma_f64 v[192:193], v[162:163], s[14:15], v[180:181]
	v_fma_f64 v[162:163], v[162:163], s[14:15], -v[180:181]
	v_add_f64_e32 v[160:161], v[160:161], v[184:185]
	v_add_f64_e64 v[180:181], v[52:53], -v[0:1]
	v_mul_f64_e32 v[241:242], s[20:21], v[221:222]
	v_mul_f64_e32 v[209:210], s[30:31], v[221:222]
	;; [unrolled: 1-line block ×3, first 2 shown]
	v_add_f64_e32 v[122:123], v[122:123], v[217:218]
	v_add_f64_e32 v[188:189], v[192:193], v[188:189]
	v_fma_f64 v[192:193], v[152:153], s[16:17], -v[178:179]
	v_add_f64_e32 v[162:163], v[162:163], v[186:187]
	v_fma_f64 v[152:153], v[152:153], s[16:17], v[178:179]
	v_add_f64_e64 v[178:179], v[38:39], -v[50:51]
	v_add_f64_e64 v[186:187], v[44:45], -v[4:5]
	v_add_f64_e32 v[190:191], v[192:193], v[190:191]
	v_fma_f64 v[192:193], v[154:155], s[16:17], v[176:177]
	v_fma_f64 v[154:155], v[154:155], s[16:17], -v[176:177]
	v_add_f64_e32 v[152:153], v[152:153], v[160:161]
	v_add_f64_e32 v[176:177], v[20:21], v[64:65]
	v_add_f64_e64 v[160:161], v[40:41], -v[56:57]
	v_mul_f64_e32 v[231:232], s[52:53], v[178:179]
	v_add_f64_e32 v[188:189], v[192:193], v[188:189]
	v_fma_f64 v[192:193], v[148:149], s[18:19], -v[174:175]
	v_add_f64_e32 v[154:155], v[154:155], v[162:163]
	v_fma_f64 v[148:149], v[148:149], s[18:19], v[174:175]
	v_add_f64_e64 v[162:163], v[34:35], -v[18:19]
	v_add_f64_e32 v[174:175], v[36:37], v[48:49]
	v_mul_f64_e32 v[249:250], s[38:39], v[160:161]
	v_add_f64_e32 v[190:191], v[192:193], v[190:191]
	v_fma_f64 v[192:193], v[150:151], s[18:19], v[172:173]
	v_fma_f64 v[150:151], v[150:151], s[18:19], -v[172:173]
	v_add_f64_e32 v[148:149], v[148:149], v[152:153]
	v_add_f64_e32 v[152:153], v[28:29], v[12:13]
	s_delay_alu instid0(VALU_DEP_4) | instskip(SKIP_4) | instid1(VALU_DEP_4)
	v_add_f64_e32 v[188:189], v[192:193], v[188:189]
	v_fma_f64 v[192:193], v[144:145], s[22:23], -v[170:171]
	v_add_f64_e32 v[150:151], v[150:151], v[154:155]
	v_fma_f64 v[144:145], v[144:145], s[22:23], v[170:171]
	v_add_f64_e32 v[170:171], v[26:27], v[62:63]
	v_add_f64_e32 v[190:191], v[192:193], v[190:191]
	v_fma_f64 v[192:193], v[146:147], s[22:23], v[168:169]
	v_fma_f64 v[146:147], v[146:147], s[22:23], -v[168:169]
	v_add_f64_e32 v[144:145], v[144:145], v[148:149]
	v_mul_f64_e32 v[148:149], s[26:27], v[221:222]
	s_delay_alu instid0(VALU_DEP_4) | instskip(SKIP_4) | instid1(VALU_DEP_4)
	v_add_f64_e32 v[188:189], v[192:193], v[188:189]
	v_fma_f64 v[192:193], v[136:137], s[24:25], -v[166:167]
	v_add_f64_e32 v[146:147], v[146:147], v[150:151]
	v_fma_f64 v[136:137], v[136:137], s[24:25], v[166:167]
	v_add_f64_e64 v[150:151], v[46:47], -v[6:7]
	v_add_f64_e32 v[190:191], v[192:193], v[190:191]
	v_fma_f64 v[192:193], v[138:139], s[24:25], v[164:165]
	v_fma_f64 v[138:139], v[138:139], s[24:25], -v[164:165]
	v_add_f64_e32 v[136:137], v[136:137], v[144:145]
	v_add_f64_e64 v[144:145], v[26:27], -v[62:63]
	v_add_f64_e32 v[164:165], v[46:47], v[6:7]
	v_mul_f64_e32 v[62:63], s[42:43], v[180:181]
	v_add_f64_e32 v[188:189], v[192:193], v[188:189]
	v_fma_f64 v[192:193], v[128:129], s[28:29], -v[158:159]
	v_add_f64_e32 v[138:139], v[138:139], v[146:147]
	v_fma_f64 v[128:129], v[128:129], s[28:29], v[158:159]
	v_add_f64_e32 v[158:159], v[32:33], v[16:17]
	v_add_f64_e32 v[146:147], v[44:45], v[4:5]
	v_mul_f64_e32 v[253:254], s[46:47], v[144:145]
	scratch_store_b64 off, v[62:63], off offset:452 ; 8-byte Folded Spill
	v_add_f64_e32 v[190:191], v[192:193], v[190:191]
	v_fma_f64 v[192:193], v[130:131], s[28:29], v[156:157]
	v_fma_f64 v[130:131], v[130:131], s[28:29], -v[156:157]
	v_add_f64_e32 v[128:129], v[128:129], v[136:137]
	v_add_f64_e64 v[156:157], v[30:31], -v[14:15]
	v_add_f64_e64 v[136:137], v[36:37], -v[48:49]
	v_add_f64_e32 v[188:189], v[192:193], v[188:189]
	v_fma_f64 v[192:193], v[132:133], s[2:3], -v[142:143]
	v_add_f64_e32 v[130:131], v[130:131], v[138:139]
	v_fma_f64 v[132:133], v[132:133], s[2:3], v[142:143]
	v_mul_f64_e32 v[245:246], s[52:53], v[136:137]
	s_delay_alu instid0(VALU_DEP_4)
	v_add_f64_e32 v[223:224], v[192:193], v[190:191]
	v_fma_f64 v[190:191], v[134:135], s[2:3], v[140:141]
	v_fma_f64 v[134:135], v[134:135], s[2:3], -v[140:141]
	v_add_f64_e32 v[227:228], v[132:133], v[128:129]
	v_mul_f64_e32 v[128:129], s[36:37], v[197:198]
	v_add_f64_e32 v[140:141], v[24:25], v[60:61]
	v_mul_f64_e32 v[60:61], s[38:39], v[239:240]
	v_add_f64_e32 v[225:226], v[190:191], v[188:189]
	v_add_f64_e32 v[229:230], v[134:135], v[130:131]
	v_mul_f64_e32 v[130:131], s[38:39], v[144:145]
	v_add_f64_e32 v[191:192], v[34:35], v[18:19]
	scratch_store_b64 off, v[60:61], off offset:580 ; 8-byte Folded Spill
	v_fma_f64 v[132:133], v[170:171], s[18:19], -v[60:61]
	v_mul_f64_e32 v[60:61], s[40:41], v[156:157]
	scratch_store_b64 off, v[128:129], off offset:1120 ; 8-byte Folded Spill
	v_fma_f64 v[128:129], v[176:177], s[14:15], v[128:129]
	scratch_store_b64 off, v[130:131], off offset:484 ; 8-byte Folded Spill
	v_fma_f64 v[130:131], v[140:141], s[18:19], v[130:131]
	scratch_store_b64 off, v[60:61], off offset:516 ; 8-byte Folded Spill
	v_add_f64_e32 v[128:129], v[8:9], v[128:129]
	s_delay_alu instid0(VALU_DEP_1) | instskip(SKIP_3) | instid1(VALU_DEP_1)
	v_add_f64_e32 v[128:129], v[130:131], v[128:129]
	v_mul_f64_e32 v[130:131], s[36:37], v[221:222]
	scratch_store_b64 off, v[130:131], off offset:1168 ; 8-byte Folded Spill
	v_fma_f64 v[130:131], v[211:212], s[14:15], -v[130:131]
	v_add_f64_e32 v[130:131], v[10:11], v[130:131]
	s_delay_alu instid0(VALU_DEP_1) | instskip(SKIP_2) | instid1(VALU_DEP_2)
	v_add_f64_e32 v[130:131], v[132:133], v[130:131]
	v_fma_f64 v[132:133], v[152:153], s[24:25], v[60:61]
	v_mul_f64_e32 v[60:61], s[40:41], v[247:248]
	v_add_f64_e32 v[128:129], v[132:133], v[128:129]
	scratch_store_b64 off, v[60:61], off offset:612 ; 8-byte Folded Spill
	v_fma_f64 v[132:133], v[182:183], s[24:25], -v[60:61]
	v_mul_f64_e32 v[60:61], s[20:21], v[162:163]
	s_delay_alu instid0(VALU_DEP_2) | instskip(SKIP_3) | instid1(VALU_DEP_2)
	v_add_f64_e32 v[130:131], v[132:133], v[130:131]
	scratch_store_b64 off, v[60:61], off offset:532 ; 8-byte Folded Spill
	v_fma_f64 v[132:133], v[158:159], s[2:3], v[60:61]
	v_mul_f64_e32 v[60:61], s[20:21], v[251:252]
	v_add_f64_e32 v[128:129], v[132:133], v[128:129]
	scratch_store_b64 off, v[60:61], off offset:632 ; 8-byte Folded Spill
	v_fma_f64 v[132:133], v[191:192], s[2:3], -v[60:61]
	v_mul_f64_e32 v[60:61], s[26:27], v[178:179]
	s_delay_alu instid0(VALU_DEP_2) | instskip(SKIP_3) | instid1(VALU_DEP_2)
	v_add_f64_e32 v[130:131], v[132:133], v[130:131]
	scratch_store_b64 off, v[60:61], off offset:596 ; 8-byte Folded Spill
	;; [unrolled: 9-line block ×4, first 2 shown]
	v_fma_f64 v[132:133], v[146:147], s[16:17], v[60:61]
	v_mul_f64_e32 v[60:61], s[34:35], v[186:187]
	v_add_f64_e32 v[134:135], v[132:133], v[128:129]
	s_delay_alu instid0(VALU_DEP_2)
	v_fma_f64 v[128:129], v[164:165], s[16:17], -v[60:61]
	v_add_f64_e64 v[132:133], v[54:55], -v[2:3]
	scratch_store_b64 off, v[60:61], off offset:548 ; 8-byte Folded Spill
	v_add_f64_e32 v[130:131], v[128:129], v[130:131]
	v_add_f64_e32 v[128:129], v[52:53], v[0:1]
	v_mul_f64_e32 v[60:61], s[42:43], v[132:133]
	scratch_store_b64 off, v[132:133], off offset:436 ; 8-byte Folded Spill
	v_fma_f64 v[138:139], v[128:129], s[8:9], v[60:61]
	scratch_store_b64 off, v[60:61], off offset:420 ; 8-byte Folded Spill
	v_add_f64_e32 v[60:61], v[138:139], v[134:135]
	v_fma_f64 v[138:139], v[236:237], s[8:9], -v[62:63]
	v_mul_f64_e32 v[134:135], s[20:21], v[197:198]
	s_delay_alu instid0(VALU_DEP_2)
	v_add_f64_e32 v[62:63], v[138:139], v[130:131]
	scratch_store_b128 off, v[60:63], off offset:12 ; 16-byte Folded Spill
	v_mul_f64_e32 v[60:61], s[38:39], v[197:198]
	v_mul_f64_e32 v[62:63], s[48:49], v[180:181]
	scratch_store_b64 off, v[60:61], off offset:1424 ; 8-byte Folded Spill
	v_fma_f64 v[130:131], v[176:177], s[18:19], v[60:61]
	v_mul_f64_e32 v[60:61], s[20:21], v[144:145]
	scratch_store_b64 off, v[62:63], off offset:564 ; 8-byte Folded Spill
	v_add_f64_e32 v[130:131], v[8:9], v[130:131]
	scratch_store_b64 off, v[60:61], off offset:744 ; 8-byte Folded Spill
	v_fma_f64 v[138:139], v[140:141], s[2:3], v[60:61]
	v_mul_f64_e32 v[60:61], s[38:39], v[221:222]
	s_delay_alu instid0(VALU_DEP_2) | instskip(SKIP_3) | instid1(VALU_DEP_2)
	v_add_f64_e32 v[130:131], v[138:139], v[130:131]
	scratch_store_b64 off, v[60:61], off offset:1440 ; 8-byte Folded Spill
	v_fma_f64 v[138:139], v[211:212], s[18:19], -v[60:61]
	v_mul_f64_e32 v[60:61], s[20:21], v[239:240]
	v_add_f64_e32 v[138:139], v[10:11], v[138:139]
	scratch_store_b64 off, v[60:61], off offset:792 ; 8-byte Folded Spill
	v_fma_f64 v[142:143], v[170:171], s[2:3], -v[60:61]
	v_mul_f64_e32 v[60:61], s[30:31], v[156:157]
	s_delay_alu instid0(VALU_DEP_2) | instskip(SKIP_3) | instid1(VALU_DEP_2)
	v_add_f64_e32 v[138:139], v[142:143], v[138:139]
	scratch_store_b64 off, v[60:61], off offset:776 ; 8-byte Folded Spill
	v_fma_f64 v[142:143], v[152:153], s[22:23], v[60:61]
	v_mul_f64_e32 v[60:61], s[30:31], v[247:248]
	v_add_f64_e32 v[130:131], v[142:143], v[130:131]
	scratch_store_b64 off, v[60:61], off offset:824 ; 8-byte Folded Spill
	v_fma_f64 v[142:143], v[182:183], s[22:23], -v[60:61]
	v_mul_f64_e32 v[60:61], s[42:43], v[162:163]
	s_delay_alu instid0(VALU_DEP_2) | instskip(SKIP_3) | instid1(VALU_DEP_2)
	v_add_f64_e32 v[138:139], v[142:143], v[138:139]
	scratch_store_b64 off, v[60:61], off offset:808 ; 8-byte Folded Spill
	v_fma_f64 v[142:143], v[158:159], s[8:9], v[60:61]
	;; [unrolled: 9-line block ×5, first 2 shown]
	v_mul_f64_e32 v[60:61], s[46:47], v[186:187]
	v_add_f64_e32 v[130:131], v[142:143], v[130:131]
	scratch_store_b64 off, v[60:61], off offset:712 ; 8-byte Folded Spill
	v_fma_f64 v[142:143], v[164:165], s[24:25], -v[60:61]
	v_mul_f64_e32 v[60:61], s[48:49], v[132:133]
	s_delay_alu instid0(VALU_DEP_2) | instskip(NEXT) | instid1(VALU_DEP_2)
	v_add_f64_e32 v[138:139], v[142:143], v[138:139]
	v_fma_f64 v[142:143], v[128:129], s[14:15], v[60:61]
	scratch_store_b64 off, v[60:61], off offset:468 ; 8-byte Folded Spill
	v_add_f64_e32 v[60:61], v[142:143], v[130:131]
	v_fma_f64 v[130:131], v[236:237], s[14:15], -v[62:63]
	s_delay_alu instid0(VALU_DEP_1)
	v_add_f64_e32 v[62:63], v[130:131], v[138:139]
	scratch_store_b128 off, v[60:63], off offset:28 ; 16-byte Folded Spill
	v_mul_f64_e32 v[60:61], s[40:41], v[197:198]
	v_mul_f64_e32 v[62:63], s[34:35], v[180:181]
	scratch_store_b64 off, v[60:61], off offset:1564 ; 8-byte Folded Spill
	v_fma_f64 v[130:131], v[176:177], s[24:25], v[60:61]
	v_mul_f64_e32 v[60:61], s[30:31], v[144:145]
	scratch_store_b64 off, v[62:63], off offset:760 ; 8-byte Folded Spill
	v_add_f64_e32 v[130:131], v[8:9], v[130:131]
	scratch_store_b64 off, v[60:61], off offset:960 ; 8-byte Folded Spill
	v_fma_f64 v[138:139], v[140:141], s[22:23], v[60:61]
	v_mul_f64_e32 v[60:61], s[40:41], v[221:222]
	s_delay_alu instid0(VALU_DEP_2) | instskip(SKIP_3) | instid1(VALU_DEP_2)
	v_add_f64_e32 v[130:131], v[138:139], v[130:131]
	scratch_store_b64 off, v[60:61], off offset:1580 ; 8-byte Folded Spill
	v_fma_f64 v[138:139], v[211:212], s[24:25], -v[60:61]
	v_mul_f64_e32 v[60:61], s[30:31], v[239:240]
	v_add_f64_e32 v[138:139], v[10:11], v[138:139]
	scratch_store_b64 off, v[60:61], off offset:1024 ; 8-byte Folded Spill
	v_fma_f64 v[142:143], v[170:171], s[22:23], -v[60:61]
	v_mul_f64_e32 v[60:61], s[56:57], v[156:157]
	s_delay_alu instid0(VALU_DEP_2) | instskip(SKIP_3) | instid1(VALU_DEP_2)
	v_add_f64_e32 v[138:139], v[142:143], v[138:139]
	scratch_store_b64 off, v[60:61], off offset:992 ; 8-byte Folded Spill
	v_fma_f64 v[142:143], v[152:153], s[8:9], v[60:61]
	v_mul_f64_e32 v[60:61], s[56:57], v[247:248]
	v_add_f64_e32 v[130:131], v[142:143], v[130:131]
	scratch_store_b64 off, v[60:61], off offset:1056 ; 8-byte Folded Spill
	v_fma_f64 v[142:143], v[182:183], s[8:9], -v[60:61]
	v_mul_f64_e32 v[60:61], s[44:45], v[162:163]
	s_delay_alu instid0(VALU_DEP_2) | instskip(SKIP_3) | instid1(VALU_DEP_2)
	v_add_f64_e32 v[138:139], v[142:143], v[138:139]
	scratch_store_b64 off, v[60:61], off offset:1040 ; 8-byte Folded Spill
	v_fma_f64 v[142:143], v[158:159], s[28:29], v[60:61]
	;; [unrolled: 9-line block ×5, first 2 shown]
	v_mul_f64_e32 v[60:61], s[20:21], v[186:187]
	v_add_f64_e32 v[130:131], v[142:143], v[130:131]
	scratch_store_b64 off, v[60:61], off offset:864 ; 8-byte Folded Spill
	v_fma_f64 v[142:143], v[164:165], s[2:3], -v[60:61]
	v_mul_f64_e32 v[60:61], s[34:35], v[132:133]
	s_delay_alu instid0(VALU_DEP_2) | instskip(NEXT) | instid1(VALU_DEP_2)
	v_add_f64_e32 v[138:139], v[142:143], v[138:139]
	v_fma_f64 v[142:143], v[128:129], s[16:17], v[60:61]
	scratch_store_b64 off, v[60:61], off offset:728 ; 8-byte Folded Spill
	v_add_f64_e32 v[60:61], v[142:143], v[130:131]
	v_fma_f64 v[130:131], v[236:237], s[16:17], -v[62:63]
	s_delay_alu instid0(VALU_DEP_1)
	v_add_f64_e32 v[62:63], v[130:131], v[138:139]
	v_fma_f64 v[130:131], v[176:177], s[2:3], v[134:135]
	scratch_store_b128 off, v[60:63], off offset:44 ; 16-byte Folded Spill
	v_mul_f64_e32 v[60:61], s[42:43], v[144:145]
	v_add_f64_e32 v[130:131], v[8:9], v[130:131]
	v_mul_f64_e32 v[62:63], s[50:51], v[180:181]
	s_delay_alu instid0(VALU_DEP_3)
	v_fma_f64 v[138:139], v[140:141], s[8:9], v[60:61]
	scratch_store_b64 off, v[60:61], off offset:1200 ; 8-byte Folded Spill
	v_mul_f64_e32 v[60:61], s[42:43], v[239:240]
	scratch_store_b64 off, v[62:63], off offset:944 ; 8-byte Folded Spill
	v_add_f64_e32 v[130:131], v[138:139], v[130:131]
	v_fma_f64 v[138:139], v[211:212], s[2:3], -v[241:242]
	scratch_store_b64 off, v[60:61], off offset:1232 ; 8-byte Folded Spill
	v_fma_f64 v[142:143], v[170:171], s[8:9], -v[60:61]
	v_mul_f64_e32 v[60:61], s[44:45], v[156:157]
	v_add_f64_e32 v[138:139], v[10:11], v[138:139]
	scratch_store_b64 off, v[60:61], off offset:1216 ; 8-byte Folded Spill
	v_add_f64_e32 v[138:139], v[142:143], v[138:139]
	v_fma_f64 v[142:143], v[152:153], s[28:29], v[60:61]
	v_mul_f64_e32 v[60:61], s[44:45], v[247:248]
	s_delay_alu instid0(VALU_DEP_2) | instskip(SKIP_3) | instid1(VALU_DEP_2)
	v_add_f64_e32 v[130:131], v[142:143], v[130:131]
	scratch_store_b64 off, v[60:61], off offset:1296 ; 8-byte Folded Spill
	v_fma_f64 v[142:143], v[182:183], s[28:29], -v[60:61]
	v_mul_f64_e32 v[60:61], s[48:49], v[162:163]
	v_add_f64_e32 v[138:139], v[142:143], v[138:139]
	scratch_store_b64 off, v[60:61], off offset:1264 ; 8-byte Folded Spill
	v_fma_f64 v[142:143], v[158:159], s[14:15], v[60:61]
	v_mul_f64_e32 v[60:61], s[48:49], v[251:252]
	s_delay_alu instid0(VALU_DEP_2) | instskip(SKIP_3) | instid1(VALU_DEP_2)
	v_add_f64_e32 v[130:131], v[142:143], v[130:131]
	scratch_store_b64 off, v[60:61], off offset:1328 ; 8-byte Folded Spill
	v_fma_f64 v[142:143], v[191:192], s[14:15], -v[60:61]
	v_mul_f64_e32 v[60:61], s[40:41], v[178:179]
	v_add_f64_e32 v[138:139], v[142:143], v[138:139]
	scratch_store_b64 off, v[60:61], off offset:1312 ; 8-byte Folded Spill
	;; [unrolled: 9-line block ×4, first 2 shown]
	v_fma_f64 v[142:143], v[146:147], s[22:23], v[60:61]
	v_mul_f64_e32 v[60:61], s[58:59], v[186:187]
	s_delay_alu instid0(VALU_DEP_2) | instskip(SKIP_3) | instid1(VALU_DEP_2)
	v_add_f64_e32 v[130:131], v[142:143], v[130:131]
	scratch_store_b64 off, v[60:61], off offset:1008 ; 8-byte Folded Spill
	v_fma_f64 v[142:143], v[164:165], s[22:23], -v[60:61]
	v_mul_f64_e32 v[60:61], s[50:51], v[132:133]
	v_add_f64_e32 v[138:139], v[142:143], v[138:139]
	s_delay_alu instid0(VALU_DEP_2) | instskip(SKIP_3) | instid1(VALU_DEP_1)
	v_fma_f64 v[142:143], v[128:129], s[18:19], v[60:61]
	scratch_store_b64 off, v[60:61], off offset:928 ; 8-byte Folded Spill
	v_add_f64_e32 v[60:61], v[142:143], v[130:131]
	v_fma_f64 v[130:131], v[236:237], s[18:19], -v[62:63]
	v_add_f64_e32 v[62:63], v[130:131], v[138:139]
	v_mul_f64_e32 v[130:131], s[26:27], v[197:198]
	scratch_store_b128 off, v[60:63], off offset:60 ; 16-byte Folded Spill
	v_fma_f64 v[138:139], v[176:177], s[28:29], v[130:131]
	v_mul_f64_e32 v[60:61], s[54:55], v[144:145]
	v_mul_f64_e32 v[62:63], s[30:31], v[180:181]
	s_delay_alu instid0(VALU_DEP_3) | instskip(NEXT) | instid1(VALU_DEP_3)
	v_add_f64_e32 v[138:139], v[8:9], v[138:139]
	v_fma_f64 v[142:143], v[140:141], s[16:17], v[60:61]
	scratch_store_b64 off, v[60:61], off offset:1456 ; 8-byte Folded Spill
	v_mul_f64_e32 v[60:61], s[54:55], v[239:240]
	scratch_store_b64 off, v[62:63], off offset:1144 ; 8-byte Folded Spill
	v_add_f64_e32 v[138:139], v[142:143], v[138:139]
	v_fma_f64 v[142:143], v[211:212], s[28:29], -v[148:149]
	scratch_store_b64 off, v[60:61], off offset:1480 ; 8-byte Folded Spill
	v_fma_f64 v[154:155], v[170:171], s[16:17], -v[60:61]
	v_mul_f64_e32 v[60:61], s[50:51], v[156:157]
	v_add_f64_e32 v[142:143], v[10:11], v[142:143]
	scratch_store_b64 off, v[60:61], off offset:1472 ; 8-byte Folded Spill
	v_add_f64_e32 v[142:143], v[154:155], v[142:143]
	v_fma_f64 v[154:155], v[152:153], s[18:19], v[60:61]
	v_mul_f64_e32 v[60:61], s[50:51], v[247:248]
	s_delay_alu instid0(VALU_DEP_2) | instskip(SKIP_3) | instid1(VALU_DEP_2)
	v_add_f64_e32 v[138:139], v[154:155], v[138:139]
	scratch_store_b64 off, v[60:61], off offset:1504 ; 8-byte Folded Spill
	v_fma_f64 v[154:155], v[182:183], s[18:19], -v[60:61]
	v_mul_f64_e32 v[60:61], s[40:41], v[162:163]
	v_add_f64_e32 v[142:143], v[154:155], v[142:143]
	scratch_store_b64 off, v[60:61], off offset:1488 ; 8-byte Folded Spill
	v_fma_f64 v[154:155], v[158:159], s[24:25], v[60:61]
	v_mul_f64_e32 v[60:61], s[40:41], v[251:252]
	s_delay_alu instid0(VALU_DEP_2) | instskip(SKIP_3) | instid1(VALU_DEP_2)
	v_add_f64_e32 v[138:139], v[154:155], v[138:139]
	scratch_store_b64 off, v[60:61], off offset:1528 ; 8-byte Folded Spill
	v_fma_f64 v[154:155], v[191:192], s[24:25], -v[60:61]
	v_mul_f64_e32 v[60:61], s[42:43], v[178:179]
	v_add_f64_e32 v[142:143], v[154:155], v[142:143]
	scratch_store_b64 off, v[60:61], off offset:1512 ; 8-byte Folded Spill
	;; [unrolled: 9-line block ×4, first 2 shown]
	v_fma_f64 v[154:155], v[146:147], s[14:15], v[60:61]
	v_mul_f64_e32 v[60:61], s[36:37], v[186:187]
	s_delay_alu instid0(VALU_DEP_2) | instskip(SKIP_3) | instid1(VALU_DEP_2)
	v_add_f64_e32 v[138:139], v[154:155], v[138:139]
	scratch_store_b64 off, v[60:61], off offset:1184 ; 8-byte Folded Spill
	v_fma_f64 v[154:155], v[164:165], s[14:15], -v[60:61]
	v_mul_f64_e32 v[60:61], s[30:31], v[132:133]
	v_add_f64_e32 v[142:143], v[154:155], v[142:143]
	s_delay_alu instid0(VALU_DEP_2) | instskip(SKIP_3) | instid1(VALU_DEP_1)
	v_fma_f64 v[154:155], v[128:129], s[22:23], v[60:61]
	scratch_store_b64 off, v[60:61], off offset:1104 ; 8-byte Folded Spill
	v_add_f64_e32 v[60:61], v[154:155], v[138:139]
	v_fma_f64 v[138:139], v[236:237], s[22:23], -v[62:63]
	v_add_f64_e32 v[62:63], v[138:139], v[142:143]
	v_fma_f64 v[138:139], v[176:177], s[22:23], v[207:208]
	scratch_store_b128 off, v[60:63], off offset:76 ; 16-byte Folded Spill
	v_mul_f64_e32 v[60:61], s[44:45], v[144:145]
	v_add_f64_e32 v[138:139], v[8:9], v[138:139]
	v_mul_f64_e32 v[62:63], s[46:47], v[180:181]
	s_delay_alu instid0(VALU_DEP_3)
	v_fma_f64 v[142:143], v[140:141], s[28:29], v[60:61]
	scratch_store_b64 off, v[60:61], off offset:1588 ; 8-byte Folded Spill
	v_mul_f64_e32 v[60:61], s[44:45], v[239:240]
	scratch_store_b64 off, v[62:63], off offset:1280 ; 8-byte Folded Spill
	v_add_f64_e32 v[138:139], v[142:143], v[138:139]
	v_fma_f64 v[142:143], v[211:212], s[22:23], -v[209:210]
	scratch_store_b64 off, v[60:61], off offset:1604 ; 8-byte Folded Spill
	v_fma_f64 v[154:155], v[170:171], s[28:29], -v[60:61]
	v_mul_f64_e32 v[60:61], s[36:37], v[156:157]
	v_add_f64_e32 v[142:143], v[10:11], v[142:143]
	scratch_store_b64 off, v[60:61], off offset:1596 ; 8-byte Folded Spill
	v_add_f64_e32 v[142:143], v[154:155], v[142:143]
	v_fma_f64 v[154:155], v[152:153], s[14:15], v[60:61]
	v_mul_f64_e32 v[60:61], s[36:37], v[247:248]
	s_delay_alu instid0(VALU_DEP_2) | instskip(SKIP_3) | instid1(VALU_DEP_2)
	v_add_f64_e32 v[138:139], v[154:155], v[138:139]
	scratch_store_b64 off, v[60:61], off offset:1620 ; 8-byte Folded Spill
	v_fma_f64 v[154:155], v[182:183], s[14:15], -v[60:61]
	v_mul_f64_e32 v[60:61], s[34:35], v[162:163]
	v_add_f64_e32 v[142:143], v[154:155], v[142:143]
	s_delay_alu instid0(VALU_DEP_2)
	v_fma_f64 v[154:155], v[158:159], s[16:17], v[60:61]
	scratch_store_b64 off, v[60:61], off offset:1612 ; 8-byte Folded Spill
	v_mul_f64_e32 v[60:61], s[42:43], v[150:151]
	v_add_f64_e32 v[138:139], v[154:155], v[138:139]
	v_fma_f64 v[154:155], v[191:192], s[16:17], -v[233:234]
	scratch_store_b64 off, v[60:61], off offset:1376 ; 8-byte Folded Spill
	v_add_f64_e32 v[142:143], v[154:155], v[142:143]
	v_fma_f64 v[154:155], v[174:175], s[2:3], v[231:232]
	s_delay_alu instid0(VALU_DEP_1) | instskip(SKIP_1) | instid1(VALU_DEP_1)
	v_add_f64_e32 v[138:139], v[154:155], v[138:139]
	v_fma_f64 v[154:155], v[201:202], s[2:3], -v[245:246]
	v_add_f64_e32 v[142:143], v[154:155], v[142:143]
	v_fma_f64 v[154:155], v[195:196], s[18:19], v[243:244]
	s_delay_alu instid0(VALU_DEP_1) | instskip(SKIP_1) | instid1(VALU_DEP_1)
	v_add_f64_e32 v[138:139], v[154:155], v[138:139]
	v_fma_f64 v[154:155], v[205:206], s[18:19], -v[249:250]
	v_add_f64_e32 v[142:143], v[154:155], v[142:143]
	v_fma_f64 v[154:155], v[146:147], s[8:9], v[60:61]
	v_mul_f64_e32 v[60:61], s[42:43], v[186:187]
	s_delay_alu instid0(VALU_DEP_2) | instskip(SKIP_4) | instid1(VALU_DEP_3)
	v_add_f64_e32 v[138:139], v[154:155], v[138:139]
	scratch_store_b64 off, v[60:61], off offset:1408 ; 8-byte Folded Spill
	v_fma_f64 v[154:155], v[164:165], s[8:9], -v[60:61]
	v_mul_f64_e32 v[60:61], s[46:47], v[132:133]
	v_mul_f64_e32 v[132:133], s[26:27], v[132:133]
	v_add_f64_e32 v[142:143], v[154:155], v[142:143]
	s_delay_alu instid0(VALU_DEP_3) | instskip(SKIP_3) | instid1(VALU_DEP_1)
	v_fma_f64 v[154:155], v[128:129], s[24:25], v[60:61]
	scratch_store_b64 off, v[60:61], off offset:1248 ; 8-byte Folded Spill
	v_add_f64_e32 v[60:61], v[154:155], v[138:139]
	v_fma_f64 v[138:139], v[236:237], s[24:25], -v[62:63]
	v_add_f64_e32 v[62:63], v[138:139], v[142:143]
	v_fma_f64 v[138:139], v[176:177], s[16:17], v[213:214]
	v_fma_f64 v[142:143], v[140:141], s[24:25], v[253:254]
	scratch_store_b128 off, v[60:63], off offset:92 ; 16-byte Folded Spill
	v_add_f64_e32 v[138:139], v[8:9], v[138:139]
	v_mul_f64_e32 v[60:61], s[50:51], v[150:151]
	s_delay_alu instid0(VALU_DEP_2)
	v_add_f64_e32 v[154:155], v[142:143], v[138:139]
	v_fma_f64 v[138:139], v[211:212], s[16:17], -v[215:216]
	v_mul_f64_e32 v[142:143], s[46:47], v[239:240]
	scratch_store_b64 off, v[60:61], off offset:1520 ; 8-byte Folded Spill
	v_add_f64_e32 v[138:139], v[10:11], v[138:139]
	v_fma_f64 v[166:167], v[170:171], s[24:25], -v[142:143]
	s_delay_alu instid0(VALU_DEP_1) | instskip(SKIP_1) | instid1(VALU_DEP_1)
	v_add_f64_e32 v[168:169], v[166:167], v[138:139]
	v_mul_f64_e32 v[138:139], s[20:21], v[156:157]
	v_fma_f64 v[166:167], v[152:153], s[2:3], v[138:139]
	s_delay_alu instid0(VALU_DEP_1) | instskip(SKIP_1) | instid1(VALU_DEP_1)
	v_add_f64_e32 v[172:173], v[166:167], v[154:155]
	v_mul_f64_e32 v[166:167], s[20:21], v[247:248]
	v_fma_f64 v[154:155], v[182:183], s[2:3], -v[166:167]
	s_delay_alu instid0(VALU_DEP_1) | instskip(SKIP_1) | instid1(VALU_DEP_1)
	v_add_f64_e32 v[168:169], v[154:155], v[168:169]
	v_mul_f64_e32 v[154:155], s[58:59], v[162:163]
	v_fma_f64 v[184:185], v[158:159], s[22:23], v[154:155]
	s_delay_alu instid0(VALU_DEP_1) | instskip(SKIP_1) | instid1(VALU_DEP_1)
	v_add_f64_e32 v[184:185], v[184:185], v[172:173]
	v_mul_f64_e32 v[172:173], s[58:59], v[251:252]
	;; [unrolled: 8-line block ×4, first 2 shown]
	v_fma_f64 v[219:220], v[205:206], s[8:9], -v[203:204]
	s_delay_alu instid0(VALU_DEP_1) | instskip(SKIP_2) | instid1(VALU_DEP_2)
	v_add_f64_e32 v[217:218], v[219:220], v[217:218]
	v_fma_f64 v[219:220], v[146:147], s[18:19], v[60:61]
	v_mul_f64_e32 v[60:61], s[50:51], v[186:187]
	v_add_f64_e32 v[188:189], v[219:220], v[188:189]
	s_delay_alu instid0(VALU_DEP_2) | instskip(SKIP_3) | instid1(VALU_DEP_1)
	v_fma_f64 v[219:220], v[164:165], s[18:19], -v[60:61]
	scratch_store_b64 off, v[60:61], off offset:1540 ; 8-byte Folded Spill
	v_add_f64_e32 v[217:218], v[219:220], v[217:218]
	v_fma_f64 v[219:220], v[128:129], s[28:29], v[132:133]
	v_add_f64_e32 v[60:61], v[219:220], v[188:189]
	v_mul_f64_e32 v[219:220], s[26:27], v[180:181]
	s_delay_alu instid0(VALU_DEP_1) | instskip(NEXT) | instid1(VALU_DEP_1)
	v_fma_f64 v[188:189], v[236:237], s[28:29], -v[219:220]
	v_add_f64_e32 v[62:63], v[188:189], v[217:218]
	scratch_store_b128 off, v[60:63], off offset:108 ; 16-byte Folded Spill
	scratch_load_b32 v61, off, off          ; 4-byte Folded Reload
	global_wb scope:SCOPE_SE
	s_wait_loadcnt 0x0
	s_wait_storecnt 0x0
	s_wait_kmcnt 0x0
	s_barrier_signal -1
	s_barrier_wait -1
	global_inv scope:SCOPE_SE
	v_mul_lo_u16 v60, v61, 17
	v_add_co_u32 v190, s33, v61, 51
	s_delay_alu instid0(VALU_DEP_2) | instskip(NEXT) | instid1(VALU_DEP_1)
	v_and_b32_e32 v60, 0xffff, v60
	v_lshlrev_b32_e32 v60, 4, v60
	ds_store_b128 v60, v[72:75]
	ds_store_b128 v60, v[76:79] offset:16
	ds_store_b128 v60, v[84:87] offset:32
	;; [unrolled: 1-line block ×15, first 2 shown]
	scratch_store_b32 off, v60, off offset:628 ; 4-byte Folded Spill
	ds_store_b128 v60, v[68:71] offset:256
	v_add_co_ci_u32_e64 v60, null, 0, 0, s33
	v_mul_u32_u24_e32 v60, 17, v190
	scratch_store_b32 off, v60, off offset:1536 ; 4-byte Folded Spill
	s_and_saveexec_b32 s33, vcc_lo
	s_cbranch_execz .LBB0_7
; %bb.6:
	v_add_f64_e32 v[20:21], v[8:9], v[20:21]
	v_add_f64_e32 v[22:23], v[10:11], v[22:23]
	v_mul_f64_e32 v[68:69], s[8:9], v[205:206]
	v_mul_f64_e32 v[78:79], s[8:9], v[195:196]
	v_mul_f64_e32 v[88:89], s[18:19], v[205:206]
	v_mul_f64_e32 v[94:95], s[14:15], v[182:183]
	v_mul_f64_e32 v[96:97], s[28:29], v[170:171]
	v_mul_f64_e32 v[102:103], s[16:17], v[158:159]
	v_mul_f64_e32 v[104:105], s[14:15], v[152:153]
	v_mul_f64_e32 v[106:107], s[28:29], v[140:141]
	v_mul_f64_e32 v[108:109], s[2:3], v[205:206]
	v_mul_f64_e32 v[110:111], s[8:9], v[201:202]
	v_mul_f64_e32 v[112:113], s[24:25], v[191:192]
	v_mul_f64_e32 v[114:115], s[18:19], v[182:183]
	v_mul_f64_e32 v[116:117], s[16:17], v[170:171]
	v_mul_f64_e32 v[118:119], s[2:3], v[195:196]
	v_mul_f64_e32 v[120:121], s[8:9], v[174:175]
	v_mul_f64_e32 v[122:123], s[24:25], v[158:159]
	v_mul_f64_e32 v[124:125], s[18:19], v[152:153]
	v_mul_f64_e32 v[126:127], s[16:17], v[140:141]
	v_mul_f64_e32 v[84:85], s[2:3], v[152:153]
	v_mul_f64_e32 v[76:77], s[24:25], v[170:171]
	v_mul_f64_e32 v[82:83], s[22:23], v[158:159]
	v_mul_f64_e32 v[74:75], s[2:3], v[182:183]
	v_mul_f64_e32 v[80:81], s[14:15], v[174:175]
	v_mul_f64_e32 v[72:73], s[22:23], v[191:192]
	v_mul_f64_e32 v[188:189], s[28:29], v[191:192]
	v_mul_f64_e32 v[70:71], s[14:15], v[201:202]
	v_mul_f64_e32 v[224:225], s[2:3], v[170:171]
	v_mul_f64_e32 v[226:227], s[28:29], v[195:196]
	v_mul_f64_e32 v[228:229], s[16:17], v[174:175]
	v_mul_f64_e32 v[100:101], s[2:3], v[174:175]
	v_mul_f64_e32 v[92:93], s[16:17], v[191:192]
	v_mul_f64_e32 v[90:91], s[2:3], v[201:202]
	v_mul_f64_e32 v[60:61], s[16:17], v[182:183]
	v_mul_f64_e32 v[199:200], s[46:47], v[199:200]
	v_mul_f64_e32 v[98:99], s[18:19], v[195:196]
	v_mul_f64_e32 v[144:145], s[48:49], v[144:145]
	v_add_f64_e32 v[20:21], v[20:21], v[24:25]
	v_add_f64_e32 v[22:23], v[22:23], v[26:27]
	v_mul_f64_e32 v[24:25], s[16:17], v[211:212]
	v_mul_f64_e32 v[26:27], s[16:17], v[176:177]
	;; [unrolled: 1-line block ×7, first 2 shown]
	v_add_f64_e64 v[84:85], v[84:85], -v[138:139]
	v_mul_f64_e32 v[138:139], s[14:15], v[191:192]
	v_add_f64_e32 v[76:77], v[142:143], v[76:77]
	v_mul_f64_e32 v[142:143], s[28:29], v[182:183]
	v_add_f64_e64 v[82:83], v[82:83], -v[154:155]
	v_mul_f64_e32 v[154:155], s[16:17], v[195:196]
	v_add_f64_e32 v[74:75], v[166:167], v[74:75]
	v_mul_f64_e32 v[166:167], s[14:15], v[158:159]
	;; [unrolled: 4-line block ×3, first 2 shown]
	v_add_f64_e32 v[70:71], v[193:194], v[70:71]
	v_mul_f64_e32 v[193:194], s[8:9], v[182:183]
	v_add_f64_e64 v[100:101], v[100:101], -v[231:232]
	v_mul_f64_e32 v[230:231], s[8:9], v[158:159]
	v_add_f64_e32 v[92:93], v[233:234], v[92:93]
	v_mul_f64_e32 v[232:233], s[22:23], v[152:153]
	v_add_f64_e32 v[20:21], v[20:21], v[28:29]
	v_add_f64_e32 v[22:23], v[22:23], v[30:31]
	;; [unrolled: 1-line block ×3, first 2 shown]
	v_add_f64_e64 v[26:27], v[26:27], -v[213:214]
	v_mul_f64_e32 v[28:29], s[22:23], v[211:212]
	v_mul_f64_e32 v[30:31], s[22:23], v[176:177]
	;; [unrolled: 1-line block ×5, first 2 shown]
	v_add_f64_e64 v[98:99], v[98:99], -v[243:244]
	v_add_f64_e64 v[86:87], v[86:87], -v[253:254]
	v_add_f64_e32 v[20:21], v[20:21], v[32:33]
	v_add_f64_e32 v[22:23], v[22:23], v[34:35]
	v_mul_f64_e32 v[32:33], s[28:29], v[211:212]
	v_mul_f64_e32 v[34:35], s[28:29], v[176:177]
	v_add_f64_e32 v[28:29], v[209:210], v[28:29]
	v_add_f64_e64 v[30:31], v[30:31], -v[207:208]
	v_mul_f64_e32 v[207:208], s[18:19], v[174:175]
	v_mul_f64_e32 v[209:210], s[28:29], v[158:159]
	v_add_f64_e32 v[20:21], v[20:21], v[36:37]
	v_add_f64_e32 v[22:23], v[22:23], v[38:39]
	;; [unrolled: 1-line block ×3, first 2 shown]
	v_add_f64_e64 v[34:35], v[34:35], -v[130:131]
	v_mul_f64_e32 v[130:131], s[16:17], v[205:206]
	v_mul_f64_e32 v[148:149], s[8:9], v[170:171]
	;; [unrolled: 1-line block ×4, first 2 shown]
	v_add_f64_e32 v[20:21], v[20:21], v[40:41]
	v_mul_f64_e32 v[40:41], s[24:25], v[211:212]
	v_add_f64_e32 v[22:23], v[22:23], v[42:43]
	v_mul_f64_e32 v[42:43], s[24:25], v[176:177]
	v_add_f64_e64 v[38:39], v[38:39], -v[134:135]
	v_add_f64_e32 v[36:37], v[241:242], v[36:37]
	v_fma_f64 v[242:243], v[158:159], s[18:19], v[162:163]
	v_fma_f64 v[162:163], v[158:159], s[18:19], -v[162:163]
	v_mul_f64_e32 v[158:159], s[2:3], v[158:159]
	v_add_f64_e32 v[20:21], v[20:21], v[44:45]
	v_mul_f64_e32 v[44:45], s[18:19], v[211:212]
	v_add_f64_e32 v[22:23], v[22:23], v[46:47]
	;; [unrolled: 2-line block ×3, first 2 shown]
	v_add_f64_e32 v[36:37], v[10:11], v[36:37]
	v_add_f64_e32 v[20:21], v[20:21], v[52:53]
	;; [unrolled: 1-line block ×3, first 2 shown]
	v_mul_f64_e32 v[54:55], s[14:15], v[176:177]
	s_delay_alu instid0(VALU_DEP_3)
	v_add_f64_e32 v[20:21], v[20:21], v[0:1]
	scratch_load_b64 v[0:1], off, off offset:1580 th:TH_LOAD_LU ; 8-byte Folded Reload
	v_add_f64_e32 v[22:23], v[22:23], v[2:3]
	scratch_load_b64 v[2:3], off, off offset:1376 th:TH_LOAD_LU ; 8-byte Folded Reload
	v_add_f64_e32 v[20:21], v[20:21], v[4:5]
	v_mul_f64_e32 v[4:5], s[14:15], v[146:147]
	v_add_f64_e32 v[22:23], v[22:23], v[6:7]
	v_mul_f64_e32 v[6:7], s[22:23], v[164:165]
	s_delay_alu instid0(VALU_DEP_4) | instskip(SKIP_1) | instid1(VALU_DEP_4)
	v_add_f64_e32 v[20:21], v[20:21], v[56:57]
	v_mul_f64_e32 v[56:57], s[18:19], v[191:192]
	v_add_f64_e32 v[22:23], v[22:23], v[58:59]
	v_mul_f64_e32 v[58:59], s[2:3], v[236:237]
	s_delay_alu instid0(VALU_DEP_4) | instskip(SKIP_1) | instid1(VALU_DEP_4)
	v_add_f64_e32 v[20:21], v[20:21], v[48:49]
	v_mul_f64_e32 v[48:49], s[14:15], v[211:212]
	v_add_f64_e32 v[22:23], v[22:23], v[50:51]
	v_mul_f64_e32 v[50:51], s[42:43], v[197:198]
	v_mul_f64_e32 v[197:198], s[22:23], v[170:171]
	v_fma_f64 v[62:63], v[180:181], s[20:21], v[58:59]
	v_add_f64_e32 v[16:17], v[20:21], v[16:17]
	v_mul_f64_e32 v[20:21], s[8:9], v[211:212]
	v_add_f64_e32 v[18:19], v[22:23], v[18:19]
	v_fma_f64 v[52:53], v[176:177], s[8:9], v[50:51]
	v_fma_f64 v[50:51], v[176:177], s[8:9], -v[50:51]
	v_mul_f64_e32 v[176:177], s[14:15], v[205:206]
	v_mul_f64_e32 v[211:212], s[8:9], v[152:153]
	v_fma_f64 v[22:23], v[221:222], s[56:57], v[20:21]
	v_fma_f64 v[20:21], v[221:222], s[42:43], v[20:21]
	v_mul_f64_e32 v[222:223], s[22:23], v[182:183]
	v_mul_f64_e32 v[182:183], s[24:25], v[182:183]
	v_add_f64_e32 v[50:51], v[8:9], v[50:51]
	v_add_f64_e32 v[52:53], v[8:9], v[52:53]
	s_wait_loadcnt 0x1
	v_add_f64_e32 v[40:41], v[0:1], v[40:41]
	scratch_load_b64 v[0:1], off, off offset:1564 th:TH_LOAD_LU ; 8-byte Folded Reload
	v_add_f64_e32 v[40:41], v[10:11], v[40:41]
	s_wait_loadcnt 0x0
	v_add_f64_e64 v[42:43], v[42:43], -v[0:1]
	scratch_load_b64 v[0:1], off, off offset:1440 th:TH_LOAD_LU ; 8-byte Folded Reload
	v_add_f64_e32 v[42:43], v[8:9], v[42:43]
	s_wait_loadcnt 0x0
	v_add_f64_e32 v[44:45], v[0:1], v[44:45]
	scratch_load_b64 v[0:1], off, off offset:1424 th:TH_LOAD_LU ; 8-byte Folded Reload
	v_add_f64_e32 v[44:45], v[10:11], v[44:45]
	s_wait_loadcnt 0x0
	v_add_f64_e64 v[46:47], v[46:47], -v[0:1]
	scratch_load_b64 v[0:1], off, off offset:1168 th:TH_LOAD_LU ; 8-byte Folded Reload
	v_add_f64_e32 v[46:47], v[8:9], v[46:47]
	s_wait_loadcnt 0x0
	v_add_f64_e32 v[48:49], v[0:1], v[48:49]
	scratch_load_b64 v[0:1], off, off offset:1120 th:TH_LOAD_LU ; 8-byte Folded Reload
	s_wait_loadcnt 0x0
	v_add_f64_e64 v[54:55], v[54:55], -v[0:1]
	v_add_f64_e32 v[0:1], v[10:11], v[22:23]
	v_dual_mov_b32 v22, v132 :: v_dual_mov_b32 v23, v133
	v_dual_mov_b32 v135, v67 :: v_dual_mov_b32 v134, v66
	;; [unrolled: 1-line block ×3, first 2 shown]
	v_mul_f64_e32 v[64:65], s[14:15], v[170:171]
	v_mul_f64_e32 v[170:171], s[18:19], v[170:171]
	scratch_store_b64 off, v[0:1], off offset:1628 ; 8-byte Folded Spill
	v_add_f64_e32 v[0:1], v[10:11], v[20:21]
	v_fma_f64 v[20:21], v[239:240], s[36:37], v[64:65]
	v_fma_f64 v[64:65], v[239:240], s[48:49], v[64:65]
	v_fma_f64 v[238:239], v[140:141], s[14:15], v[144:145]
	v_fma_f64 v[144:145], v[140:141], s[14:15], -v[144:145]
	v_mul_f64_e32 v[140:141], s[18:19], v[140:141]
	v_fma_f64 v[240:241], v[152:153], s[16:17], v[156:157]
	v_fma_f64 v[156:157], v[152:153], s[16:17], -v[156:157]
	v_mul_f64_e32 v[152:153], s[24:25], v[152:153]
	scratch_store_b64 off, v[0:1], off offset:1636 ; 8-byte Folded Spill
	v_add_f64_e32 v[0:1], v[10:11], v[24:25]
	v_dual_mov_b32 v24, v219 :: v_dual_mov_b32 v25, v220
	v_mul_f64_e32 v[218:219], s[16:17], v[201:202]
	v_mul_f64_e32 v[220:221], s[8:9], v[191:192]
	;; [unrolled: 1-line block ×3, first 2 shown]
	v_add_f64_e32 v[52:53], v[238:239], v[52:53]
	v_add_f64_e32 v[50:51], v[144:145], v[50:51]
	scratch_store_b64 off, v[0:1], off offset:1644 ; 8-byte Folded Spill
	v_add_f64_e32 v[0:1], v[8:9], v[26:27]
	v_mul_f64_e32 v[26:27], s[22:23], v[128:129]
	v_add_f64_e32 v[50:51], v[156:157], v[50:51]
	scratch_store_b64 off, v[0:1], off offset:1652 ; 8-byte Folded Spill
	v_add_f64_e32 v[0:1], v[10:11], v[28:29]
	v_fma_f64 v[28:29], v[247:248], s[54:55], v[60:61]
	v_fma_f64 v[60:61], v[247:248], s[34:35], v[60:61]
	v_add_f64_e32 v[50:51], v[162:163], v[50:51]
	scratch_store_b64 off, v[0:1], off offset:1660 ; 8-byte Folded Spill
	v_add_f64_e32 v[0:1], v[8:9], v[30:31]
	v_mul_f64_e32 v[30:31], s[18:19], v[128:129]
	scratch_store_b64 off, v[0:1], off offset:1668 ; 8-byte Folded Spill
	v_add_f64_e32 v[0:1], v[10:11], v[32:33]
	v_fma_f64 v[32:33], v[251:252], s[38:39], v[56:57]
	v_fma_f64 v[56:57], v[251:252], s[50:51], v[56:57]
	v_mul_f64_e32 v[252:253], s[8:9], v[164:165]
	scratch_store_b64 off, v[0:1], off offset:1676 ; 8-byte Folded Spill
	v_add_f64_e32 v[0:1], v[8:9], v[34:35]
	scratch_load_b64 v[34:35], off, off offset:760 th:TH_LOAD_LU ; 8-byte Folded Reload
	scratch_store_b64 off, v[0:1], off offset:1684 ; 8-byte Folded Spill
	v_add_f64_e32 v[0:1], v[10:11], v[48:49]
	v_mul_f64_e32 v[48:49], s[22:23], v[201:202]
	v_fma_f64 v[10:11], v[195:196], s[24:25], v[199:200]
	v_fma_f64 v[199:200], v[195:196], s[24:25], -v[199:200]
	scratch_store_b64 off, v[0:1], off offset:1692 ; 8-byte Folded Spill
	v_add_f64_e32 v[0:1], v[8:9], v[54:55]
	v_add_f64_e32 v[54:55], v[245:246], v[90:91]
	v_fma_f64 v[244:245], v[174:175], s[22:23], v[178:179]
	v_fma_f64 v[178:179], v[174:175], s[22:23], -v[178:179]
	v_mul_f64_e32 v[246:247], s[28:29], v[164:165]
	v_fma_f64 v[8:9], v[180:181], s[52:53], v[58:59]
	v_mul_f64_e32 v[180:181], s[28:29], v[236:237]
	scratch_store_b64 off, v[0:1], off offset:1700 ; 8-byte Folded Spill
	v_add_f64_e32 v[0:1], v[18:19], v[14:15]
	v_mul_f64_e32 v[14:15], s[2:3], v[164:165]
	v_mul_f64_e32 v[18:19], s[24:25], v[164:165]
	scratch_load_b64 v[144:145], off, off offset:1700 th:TH_LOAD_LU ; 8-byte Folded Reload
	v_add_f64_e32 v[180:181], v[24:25], v[180:181]
	v_mul_f64_e32 v[24:25], s[24:25], v[128:129]
	scratch_store_b64 off, v[0:1], off offset:1120 ; 8-byte Folded Spill
	v_add_f64_e32 v[0:1], v[16:17], v[12:13]
	v_mul_f64_e32 v[16:17], s[24:25], v[205:206]
	v_mul_f64_e32 v[205:206], s[22:23], v[205:206]
	;; [unrolled: 1-line block ×3, first 2 shown]
	scratch_store_b64 off, v[0:1], off offset:1168 ; 8-byte Folded Spill
	v_fma_f64 v[0:1], v[160:161], s[40:41], v[16:17]
	scratch_store_b64 off, v[0:1], off offset:1440 ; 8-byte Folded Spill
	v_fma_f64 v[0:1], v[160:161], s[46:47], v[16:17]
	v_mul_f64_e32 v[160:161], s[24:25], v[174:175]
	v_mul_f64_e32 v[174:175], s[28:29], v[174:175]
	;; [unrolled: 1-line block ×3, first 2 shown]
	scratch_store_b64 off, v[0:1], off offset:1424 ; 8-byte Folded Spill
	v_fma_f64 v[0:1], v[136:137], s[58:59], v[48:49]
	v_fma_f64 v[48:49], v[136:137], s[30:31], v[48:49]
	v_mul_f64_e32 v[136:137], s[24:25], v[201:202]
	scratch_store_b64 off, v[0:1], off offset:1708 ; 8-byte Folded Spill
	v_add_f64_e32 v[0:1], v[203:204], v[68:69]
	v_mul_f64_e32 v[203:204], s[14:15], v[195:196]
	v_mul_f64_e32 v[195:196], s[22:23], v[195:196]
	;; [unrolled: 1-line block ×3, first 2 shown]
	scratch_store_b64 off, v[0:1], off offset:1580 ; 8-byte Folded Spill
	v_add_f64_e64 v[0:1], v[78:79], -v[184:185]
	v_mul_f64_e32 v[184:185], s[18:19], v[201:202]
	v_mul_f64_e32 v[201:202], s[28:29], v[201:202]
	v_mul_f64_e32 v[78:79], s[24:25], v[146:147]
	v_add_f64_e64 v[68:69], v[68:69], -v[22:23]
	v_mul_f64_e32 v[22:23], s[24:25], v[236:237]
	scratch_store_b64 off, v[0:1], off offset:1564 ; 8-byte Folded Spill
	v_add_f64_e32 v[0:1], v[249:250], v[88:89]
	v_fma_f64 v[248:249], v[186:187], s[44:45], v[246:247]
	v_fma_f64 v[186:187], v[186:187], s[26:27], v[246:247]
	v_mul_f64_e32 v[246:247], s[18:19], v[164:165]
	v_mul_f64_e32 v[250:251], s[18:19], v[146:147]
	scratch_store_b64 off, v[0:1], off offset:1716 ; 8-byte Folded Spill
	scratch_load_b64 v[0:1], off, off offset:1620 th:TH_LOAD_LU ; 8-byte Folded Reload
	s_wait_loadcnt 0x0
	v_add_f64_e32 v[94:95], v[0:1], v[94:95]
	scratch_load_b64 v[0:1], off, off offset:1604 th:TH_LOAD_LU ; 8-byte Folded Reload
	s_wait_loadcnt 0x0
	v_add_f64_e32 v[96:97], v[0:1], v[96:97]
	scratch_load_b64 v[0:1], off, off offset:1612 th:TH_LOAD_LU ; 8-byte Folded Reload
	s_wait_loadcnt 0x0
	v_add_f64_e64 v[102:103], v[102:103], -v[0:1]
	scratch_load_b64 v[0:1], off, off offset:1596 th:TH_LOAD_LU ; 8-byte Folded Reload
	s_wait_loadcnt 0x0
	v_add_f64_e64 v[104:105], v[104:105], -v[0:1]
	;; [unrolled: 3-line block ×3, first 2 shown]
	scratch_load_b64 v[0:1], off, off offset:1572 th:TH_LOAD_LU ; 8-byte Folded Reload
	s_wait_loadcnt 0x0
	v_add_f64_e32 v[108:109], v[0:1], v[108:109]
	scratch_load_b64 v[0:1], off, off offset:1556 th:TH_LOAD_LU ; 8-byte Folded Reload
	s_wait_loadcnt 0x0
	v_add_f64_e32 v[110:111], v[0:1], v[110:111]
	;; [unrolled: 3-line block ×5, first 2 shown]
	scratch_load_b64 v[0:1], off, off offset:1548 th:TH_LOAD_LU ; 8-byte Folded Reload
	s_wait_loadcnt 0x0
	v_add_f64_e64 v[118:119], v[118:119], -v[0:1]
	scratch_load_b64 v[0:1], off, off offset:1512 th:TH_LOAD_LU ; 8-byte Folded Reload
	s_wait_loadcnt 0x0
	v_add_f64_e64 v[120:121], v[120:121], -v[0:1]
	;; [unrolled: 3-line block ×5, first 2 shown]
	scratch_load_b64 v[0:1], off, off offset:1392 th:TH_LOAD_LU ; 8-byte Folded Reload
	s_wait_loadcnt 0x0
	v_add_f64_e32 v[130:131], v[0:1], v[130:131]
	scratch_load_b64 v[0:1], off, off offset:1360 th:TH_LOAD_LU ; 8-byte Folded Reload
	s_wait_loadcnt 0x0
	v_add_f64_e32 v[136:137], v[0:1], v[136:137]
	;; [unrolled: 3-line block ×5, first 2 shown]
	scratch_load_b64 v[0:1], off, off offset:1344 th:TH_LOAD_LU ; 8-byte Folded Reload
	v_add_f64_e32 v[36:37], v[148:149], v[36:37]
	scratch_load_b64 v[148:149], off, off offset:728 th:TH_LOAD_LU ; 8-byte Folded Reload
	v_add_f64_e32 v[36:37], v[142:143], v[36:37]
	s_delay_alu instid0(VALU_DEP_1) | instskip(NEXT) | instid1(VALU_DEP_1)
	v_add_f64_e32 v[36:37], v[138:139], v[36:37]
	v_add_f64_e32 v[36:37], v[136:137], v[36:37]
	s_delay_alu instid0(VALU_DEP_1)
	v_add_f64_e32 v[36:37], v[130:131], v[36:37]
	s_wait_loadcnt 0x1
	v_add_f64_e64 v[154:155], v[154:155], -v[0:1]
	scratch_load_b64 v[0:1], off, off offset:1312 th:TH_LOAD_LU ; 8-byte Folded Reload
	s_wait_loadcnt 0x0
	v_add_f64_e64 v[160:161], v[160:161], -v[0:1]
	scratch_load_b64 v[0:1], off, off offset:1264 th:TH_LOAD_LU ; 8-byte Folded Reload
	;; [unrolled: 3-line block ×5, first 2 shown]
	v_add_f64_e32 v[38:39], v[172:173], v[38:39]
	s_delay_alu instid0(VALU_DEP_1) | instskip(NEXT) | instid1(VALU_DEP_1)
	v_add_f64_e32 v[38:39], v[168:169], v[38:39]
	v_add_f64_e32 v[38:39], v[166:167], v[38:39]
	s_delay_alu instid0(VALU_DEP_1) | instskip(NEXT) | instid1(VALU_DEP_1)
	v_add_f64_e32 v[38:39], v[160:161], v[38:39]
	v_add_f64_e32 v[38:39], v[154:155], v[38:39]
	s_wait_loadcnt 0x0
	v_add_f64_e32 v[176:177], v[0:1], v[176:177]
	scratch_load_b64 v[0:1], off, off offset:1152 th:TH_LOAD_LU ; 8-byte Folded Reload
	s_wait_loadcnt 0x0
	v_add_f64_e32 v[184:185], v[0:1], v[184:185]
	scratch_load_b64 v[0:1], off, off offset:1088 th:TH_LOAD_LU ; 8-byte Folded Reload
	;; [unrolled: 3-line block ×5, first 2 shown]
	v_add_f64_e32 v[40:41], v[197:198], v[40:41]
	s_delay_alu instid0(VALU_DEP_1) | instskip(NEXT) | instid1(VALU_DEP_1)
	v_add_f64_e32 v[40:41], v[193:194], v[40:41]
	v_add_f64_e32 v[40:41], v[188:189], v[40:41]
	s_delay_alu instid0(VALU_DEP_1) | instskip(NEXT) | instid1(VALU_DEP_1)
	v_add_f64_e32 v[40:41], v[184:185], v[40:41]
	v_add_f64_e32 v[40:41], v[176:177], v[40:41]
	s_wait_loadcnt 0x0
	v_add_f64_e64 v[203:204], v[203:204], -v[0:1]
	scratch_load_b64 v[0:1], off, off offset:1072 th:TH_LOAD_LU ; 8-byte Folded Reload
	s_wait_loadcnt 0x0
	v_add_f64_e64 v[207:208], v[207:208], -v[0:1]
	scratch_load_b64 v[0:1], off, off offset:1040 th:TH_LOAD_LU ; 8-byte Folded Reload
	;; [unrolled: 3-line block ×5, first 2 shown]
	v_add_f64_e32 v[42:43], v[213:214], v[42:43]
	s_delay_alu instid0(VALU_DEP_1) | instskip(NEXT) | instid1(VALU_DEP_1)
	v_add_f64_e32 v[42:43], v[211:212], v[42:43]
	v_add_f64_e32 v[42:43], v[209:210], v[42:43]
	s_delay_alu instid0(VALU_DEP_1) | instskip(NEXT) | instid1(VALU_DEP_1)
	v_add_f64_e32 v[42:43], v[207:208], v[42:43]
	v_add_f64_e32 v[42:43], v[203:204], v[42:43]
	s_wait_loadcnt 0x0
	v_add_f64_e32 v[215:216], v[0:1], v[215:216]
	scratch_load_b64 v[0:1], off, off offset:896 th:TH_LOAD_LU ; 8-byte Folded Reload
	s_wait_loadcnt 0x0
	v_add_f64_e32 v[218:219], v[0:1], v[218:219]
	scratch_load_b64 v[0:1], off, off offset:872 th:TH_LOAD_LU ; 8-byte Folded Reload
	;; [unrolled: 3-line block ×5, first 2 shown]
	v_add_f64_e32 v[44:45], v[224:225], v[44:45]
	s_delay_alu instid0(VALU_DEP_1) | instskip(NEXT) | instid1(VALU_DEP_1)
	v_add_f64_e32 v[44:45], v[222:223], v[44:45]
	v_add_f64_e32 v[44:45], v[220:221], v[44:45]
	s_delay_alu instid0(VALU_DEP_1) | instskip(NEXT) | instid1(VALU_DEP_1)
	v_add_f64_e32 v[44:45], v[218:219], v[44:45]
	v_add_f64_e32 v[44:45], v[215:216], v[44:45]
	s_wait_loadcnt 0x0
	v_add_f64_e64 v[226:227], v[226:227], -v[0:1]
	scratch_load_b64 v[0:1], off, off offset:856 th:TH_LOAD_LU ; 8-byte Folded Reload
	s_wait_loadcnt 0x0
	v_add_f64_e64 v[228:229], v[228:229], -v[0:1]
	scratch_load_b64 v[0:1], off, off offset:808 th:TH_LOAD_LU ; 8-byte Folded Reload
	;; [unrolled: 3-line block ×5, first 2 shown]
	v_add_f64_e32 v[46:47], v[234:235], v[46:47]
	s_delay_alu instid0(VALU_DEP_1) | instskip(NEXT) | instid1(VALU_DEP_1)
	v_add_f64_e32 v[46:47], v[232:233], v[46:47]
	v_add_f64_e32 v[46:47], v[230:231], v[46:47]
	s_delay_alu instid0(VALU_DEP_1) | instskip(NEXT) | instid1(VALU_DEP_1)
	v_add_f64_e32 v[46:47], v[228:229], v[46:47]
	v_add_f64_e32 v[46:47], v[226:227], v[46:47]
	s_wait_loadcnt 0x0
	v_add_f64_e32 v[205:206], v[0:1], v[205:206]
	scratch_load_b64 v[0:1], off, off offset:664 th:TH_LOAD_LU ; 8-byte Folded Reload
	s_wait_loadcnt 0x0
	v_add_f64_e32 v[201:202], v[0:1], v[201:202]
	scratch_load_b64 v[0:1], off, off offset:632 th:TH_LOAD_LU ; 8-byte Folded Reload
	s_wait_loadcnt 0x0
	v_add_f64_e32 v[191:192], v[0:1], v[191:192]
	scratch_load_b64 v[0:1], off, off offset:612 th:TH_LOAD_LU ; 8-byte Folded Reload
	s_wait_loadcnt 0x0
	v_add_f64_e32 v[182:183], v[0:1], v[182:183]
	scratch_load_b64 v[0:1], off, off offset:580 th:TH_LOAD_LU ; 8-byte Folded Reload
	s_wait_loadcnt 0x0
	v_add_f64_e32 v[170:171], v[0:1], v[170:171]
	scratch_load_b64 v[0:1], off, off offset:648 th:TH_LOAD_LU ; 8-byte Folded Reload
	s_wait_loadcnt 0x0
	v_add_f64_e64 v[195:196], v[195:196], -v[0:1]
	scratch_load_b64 v[0:1], off, off offset:484 th:TH_LOAD_LU ; 8-byte Folded Reload
	s_wait_loadcnt 0x0
	v_add_f64_e64 v[140:141], v[140:141], -v[0:1]
	scratch_load_b64 v[0:1], off, off offset:516 th:TH_LOAD_LU ; 8-byte Folded Reload
	v_add_f64_e32 v[140:141], v[140:141], v[144:145]
	v_mul_f64_e32 v[144:145], s[16:17], v[128:129]
	s_wait_loadcnt 0x0
	v_add_f64_e64 v[152:153], v[152:153], -v[0:1]
	scratch_load_b64 v[0:1], off, off offset:532 th:TH_LOAD_LU ; 8-byte Folded Reload
	s_wait_loadcnt 0x0
	v_add_f64_e64 v[158:159], v[158:159], -v[0:1]
	scratch_load_b64 v[0:1], off, off offset:596 th:TH_LOAD_LU ; 8-byte Folded Reload
	;; [unrolled: 3-line block ×3, first 2 shown]
	s_wait_loadcnt 0x0
	v_add_f64_e32 v[246:247], v[0:1], v[246:247]
	scratch_load_b64 v[0:1], off, off offset:1520 th:TH_LOAD_LU ; 8-byte Folded Reload
	s_wait_loadcnt 0x0
	v_add_f64_e64 v[250:251], v[250:251], -v[0:1]
	scratch_load_b64 v[0:1], off, off offset:1408 th:TH_LOAD_LU ; 8-byte Folded Reload
	s_wait_loadcnt 0x0
	v_add_f64_e32 v[252:253], v[0:1], v[252:253]
	v_mul_f64_e32 v[0:1], s[8:9], v[146:147]
	s_delay_alu instid0(VALU_DEP_1) | instskip(SKIP_4) | instid1(VALU_DEP_2)
	v_add_f64_e64 v[88:89], v[0:1], -v[2:3]
	scratch_load_b64 v[0:1], off, off offset:1184 th:TH_LOAD_LU ; 8-byte Folded Reload
	v_mul_f64_e32 v[2:3], s[14:15], v[164:165]
	v_mul_f64_e32 v[164:165], s[16:17], v[164:165]
	s_wait_loadcnt 0x0
	v_add_f64_e32 v[90:91], v[0:1], v[2:3]
	s_clause 0x1
	scratch_load_b64 v[0:1], off, off offset:1176 th:TH_LOAD_LU
	scratch_load_b64 v[2:3], off, off offset:500 th:TH_LOAD_LU
	s_wait_loadcnt 0x1
	v_add_f64_e64 v[4:5], v[4:5], -v[0:1]
	scratch_load_b64 v[0:1], off, off offset:1008 th:TH_LOAD_LU ; 8-byte Folded Reload
	s_wait_loadcnt 0x0
	v_add_f64_e32 v[6:7], v[0:1], v[6:7]
	scratch_load_b64 v[0:1], off, off offset:976 th:TH_LOAD_LU ; 8-byte Folded Reload
	v_add_f64_e32 v[36:37], v[6:7], v[36:37]
	s_wait_loadcnt 0x0
	v_add_f64_e64 v[12:13], v[12:13], -v[0:1]
	scratch_load_b64 v[0:1], off, off offset:864 th:TH_LOAD_LU ; 8-byte Folded Reload
	v_add_f64_e32 v[12:13], v[12:13], v[38:39]
	s_wait_loadcnt 0x0
	v_add_f64_e32 v[14:15], v[0:1], v[14:15]
	scratch_load_b64 v[0:1], off, off offset:840 th:TH_LOAD_LU ; 8-byte Folded Reload
	v_add_f64_e32 v[40:41], v[14:15], v[40:41]
	s_wait_loadcnt 0x0
	v_add_f64_e64 v[16:17], v[16:17], -v[0:1]
	scratch_load_b64 v[0:1], off, off offset:712 th:TH_LOAD_LU ; 8-byte Folded Reload
	v_add_f64_e32 v[16:17], v[16:17], v[42:43]
	;; [unrolled: 8-line block ×3, first 2 shown]
	s_wait_loadcnt 0x0
	v_add_f64_e32 v[164:165], v[0:1], v[164:165]
	v_fma_f64 v[0:1], v[146:147], s[28:29], v[150:151]
	v_fma_f64 v[150:151], v[146:147], s[28:29], -v[150:151]
	v_mul_f64_e32 v[146:147], s[16:17], v[146:147]
	s_delay_alu instid0(VALU_DEP_1)
	v_add_f64_e64 v[146:147], v[146:147], -v[2:3]
	scratch_load_b64 v[2:3], off, off offset:1280 th:TH_LOAD_LU ; 8-byte Folded Reload
	s_wait_loadcnt 0x0
	v_add_f64_e32 v[22:23], v[2:3], v[22:23]
	scratch_load_b64 v[2:3], off, off offset:1248 th:TH_LOAD_LU ; 8-byte Folded Reload
	s_wait_loadcnt 0x0
	v_add_f64_e64 v[66:67], v[24:25], -v[2:3]
	scratch_load_b64 v[2:3], off, off offset:1144 th:TH_LOAD_LU ; 8-byte Folded Reload
	v_mul_f64_e32 v[24:25], s[22:23], v[236:237]
	s_wait_loadcnt 0x0
	s_delay_alu instid0(VALU_DEP_1)
	v_add_f64_e32 v[24:25], v[2:3], v[24:25]
	scratch_load_b64 v[2:3], off, off offset:1104 th:TH_LOAD_LU ; 8-byte Folded Reload
	s_wait_loadcnt 0x0
	v_add_f64_e64 v[58:59], v[26:27], -v[2:3]
	scratch_load_b64 v[2:3], off, off offset:944 th:TH_LOAD_LU ; 8-byte Folded Reload
	v_mul_f64_e32 v[26:27], s[18:19], v[236:237]
	s_wait_loadcnt 0x0
	s_delay_alu instid0(VALU_DEP_1)
	v_add_f64_e32 v[26:27], v[2:3], v[26:27]
	scratch_load_b64 v[2:3], off, off offset:928 th:TH_LOAD_LU ; 8-byte Folded Reload
	v_add_f64_e32 v[26:27], v[26:27], v[36:37]
	s_wait_loadcnt 0x0
	v_add_f64_e64 v[2:3], v[30:31], -v[2:3]
	v_mul_f64_e32 v[30:31], s[16:17], v[236:237]
	s_delay_alu instid0(VALU_DEP_1) | instskip(SKIP_3) | instid1(VALU_DEP_1)
	v_add_f64_e32 v[30:31], v[34:35], v[30:31]
	scratch_load_b64 v[34:35], off, off offset:1628 th:TH_LOAD_LU ; 8-byte Folded Reload
	v_add_f64_e32 v[30:31], v[30:31], v[40:41]
	v_mul_u32_u24_e32 v40, 17, v190
	v_lshlrev_b32_e32 v40, 4, v40
	s_wait_loadcnt 0x0
	v_add_f64_e32 v[20:21], v[20:21], v[34:35]
	scratch_load_b64 v[34:35], off, off offset:1636 th:TH_LOAD_LU ; 8-byte Folded Reload
	v_add_f64_e32 v[20:21], v[28:29], v[20:21]
	v_add_f64_e32 v[28:29], v[240:241], v[52:53]
	s_delay_alu instid0(VALU_DEP_2) | instskip(NEXT) | instid1(VALU_DEP_2)
	v_add_f64_e32 v[20:21], v[32:33], v[20:21]
	v_add_f64_e32 v[28:29], v[242:243], v[28:29]
	s_delay_alu instid0(VALU_DEP_1) | instskip(NEXT) | instid1(VALU_DEP_1)
	v_add_f64_e32 v[28:29], v[244:245], v[28:29]
	v_add_f64_e32 v[28:29], v[10:11], v[28:29]
	scratch_load_b64 v[10:11], off, off offset:1424 th:TH_LOAD_LU ; 8-byte Folded Reload
	v_add_f64_e32 v[28:29], v[0:1], v[28:29]
	s_wait_loadcnt 0x1
	v_add_f64_e32 v[64:65], v[64:65], v[34:35]
	scratch_load_b64 v[34:35], off, off offset:1644 th:TH_LOAD_LU ; 8-byte Folded Reload
	v_add_f64_e32 v[52:53], v[60:61], v[64:65]
	s_delay_alu instid0(VALU_DEP_1) | instskip(NEXT) | instid1(VALU_DEP_1)
	v_add_f64_e32 v[32:33], v[56:57], v[52:53]
	v_add_f64_e32 v[32:33], v[48:49], v[32:33]
	;; [unrolled: 1-line block ×3, first 2 shown]
	s_delay_alu instid0(VALU_DEP_1) | instskip(SKIP_1) | instid1(VALU_DEP_3)
	v_add_f64_e32 v[48:49], v[199:200], v[48:49]
	s_wait_loadcnt 0x1
	v_add_f64_e32 v[32:33], v[10:11], v[32:33]
	scratch_load_b64 v[10:11], off, off offset:1580 th:TH_LOAD_LU ; 8-byte Folded Reload
	v_add_f64_e32 v[48:49], v[150:151], v[48:49]
	v_add_f64_e32 v[32:33], v[186:187], v[32:33]
	s_wait_loadcnt 0x1
	v_add_f64_e32 v[76:77], v[76:77], v[34:35]
	scratch_load_b64 v[34:35], off, off offset:1652 th:TH_LOAD_LU ; 8-byte Folded Reload
	v_add_f64_e32 v[60:61], v[74:75], v[76:77]
	s_delay_alu instid0(VALU_DEP_1) | instskip(NEXT) | instid1(VALU_DEP_1)
	v_add_f64_e32 v[52:53], v[72:73], v[60:61]
	v_add_f64_e32 v[50:51], v[70:71], v[52:53]
	s_wait_loadcnt 0x1
	s_delay_alu instid0(VALU_DEP_1) | instskip(SKIP_2) | instid1(VALU_DEP_1)
	v_add_f64_e32 v[50:51], v[10:11], v[50:51]
	scratch_load_b64 v[10:11], off, off offset:1716 th:TH_LOAD_LU ; 8-byte Folded Reload
	v_add_f64_e32 v[50:51], v[246:247], v[50:51]
	v_add_f64_e32 v[14:15], v[180:181], v[50:51]
	s_wait_loadcnt 0x1
	v_add_f64_e32 v[86:87], v[86:87], v[34:35]
	scratch_load_b64 v[34:35], off, off offset:1660 th:TH_LOAD_LU ; 8-byte Folded Reload
	v_add_f64_e32 v[64:65], v[84:85], v[86:87]
	s_delay_alu instid0(VALU_DEP_1) | instskip(SKIP_1) | instid1(VALU_DEP_2)
	v_add_f64_e32 v[56:57], v[82:83], v[64:65]
	v_mul_f64_e32 v[82:83], s[14:15], v[128:129]
	v_add_f64_e32 v[52:53], v[80:81], v[56:57]
	v_mul_f64_e32 v[80:81], s[8:9], v[128:129]
	s_wait_loadcnt 0x0
	v_add_f64_e32 v[96:97], v[96:97], v[34:35]
	scratch_load_b64 v[34:35], off, off offset:1668 th:TH_LOAD_LU ; 8-byte Folded Reload
	v_add_f64_e32 v[74:75], v[94:95], v[96:97]
	v_add_f64_e32 v[94:95], v[152:153], v[140:141]
	v_mul_f64_e32 v[96:97], s[14:15], v[236:237]
	s_delay_alu instid0(VALU_DEP_3) | instskip(NEXT) | instid1(VALU_DEP_1)
	v_add_f64_e32 v[60:61], v[92:93], v[74:75]
	v_add_f64_e32 v[54:55], v[54:55], v[60:61]
	s_delay_alu instid0(VALU_DEP_1) | instskip(SKIP_2) | instid1(VALU_DEP_1)
	v_add_f64_e32 v[54:55], v[10:11], v[54:55]
	scratch_load_b64 v[10:11], off, off offset:1564 th:TH_LOAD_LU ; 8-byte Folded Reload
	v_add_f64_e32 v[54:55], v[252:253], v[54:55]
	v_add_f64_e32 v[18:19], v[22:23], v[54:55]
	s_wait_loadcnt 0x1
	v_add_f64_e32 v[106:107], v[106:107], v[34:35]
	scratch_load_b64 v[34:35], off, off offset:1676 th:TH_LOAD_LU ; 8-byte Folded Reload
	v_add_f64_e32 v[76:77], v[104:105], v[106:107]
	scratch_load_b64 v[104:105], off, off offset:564 th:TH_LOAD_LU ; 8-byte Folded Reload
	v_add_f64_e32 v[64:65], v[102:103], v[76:77]
	v_add_f64_e32 v[76:77], v[158:159], v[94:95]
	s_delay_alu instid0(VALU_DEP_2) | instskip(NEXT) | instid1(VALU_DEP_2)
	v_add_f64_e32 v[56:57], v[100:101], v[64:65]
	v_add_f64_e32 v[70:71], v[174:175], v[76:77]
	s_delay_alu instid0(VALU_DEP_2) | instskip(NEXT) | instid1(VALU_DEP_2)
	v_add_f64_e32 v[56:57], v[98:99], v[56:57]
	v_add_f64_e32 v[70:71], v[195:196], v[70:71]
	s_wait_loadcnt 0x2
	v_add_f64_e32 v[52:53], v[10:11], v[52:53]
	scratch_load_b64 v[10:11], off, off offset:436 th:TH_LOAD_LU ; 8-byte Folded Reload
	v_add_f64_e32 v[42:43], v[88:89], v[56:57]
	v_add_f64_e32 v[52:53], v[250:251], v[52:53]
	s_wait_loadcnt 0x2
	v_add_f64_e32 v[116:117], v[116:117], v[34:35]
	scratch_load_b64 v[34:35], off, off offset:1684 th:TH_LOAD_LU ; 8-byte Folded Reload
	v_add_f64_e32 v[84:85], v[114:115], v[116:117]
	s_delay_alu instid0(VALU_DEP_1) | instskip(SKIP_4) | instid1(VALU_DEP_2)
	v_add_f64_e32 v[72:73], v[112:113], v[84:85]
	scratch_load_b64 v[84:85], off, off offset:468 th:TH_LOAD_LU ; 8-byte Folded Reload
	v_add_f64_e64 v[144:145], v[144:145], -v[148:149]
	v_add_f64_e32 v[60:61], v[110:111], v[72:73]
	v_mul_f64_e32 v[72:73], s[8:9], v[236:237]
	v_add_f64_e32 v[60:61], v[108:109], v[60:61]
	s_delay_alu instid0(VALU_DEP_1) | instskip(NEXT) | instid1(VALU_DEP_1)
	v_add_f64_e32 v[60:61], v[90:91], v[60:61]
	v_add_f64_e32 v[22:23], v[24:25], v[60:61]
	;; [unrolled: 1-line block ×4, first 2 shown]
	s_wait_loadcnt 0x1
	v_add_f64_e32 v[34:35], v[126:127], v[34:35]
	scratch_load_b64 v[126:127], off, off offset:1692 th:TH_LOAD_LU ; 8-byte Folded Reload
	v_add_f64_e32 v[34:35], v[124:125], v[34:35]
	s_delay_alu instid0(VALU_DEP_1) | instskip(NEXT) | instid1(VALU_DEP_1)
	v_add_f64_e32 v[34:35], v[122:123], v[34:35]
	v_add_f64_e32 v[34:35], v[120:121], v[34:35]
	s_delay_alu instid0(VALU_DEP_1) | instskip(NEXT) | instid1(VALU_DEP_1)
	v_add_f64_e32 v[34:35], v[118:119], v[34:35]
	v_add_f64_e32 v[38:39], v[4:5], v[34:35]
	s_wait_loadcnt 0x0
	v_add_f64_e32 v[126:127], v[170:171], v[126:127]
	s_delay_alu instid0(VALU_DEP_1) | instskip(NEXT) | instid1(VALU_DEP_1)
	v_add_f64_e32 v[86:87], v[182:183], v[126:127]
	v_add_f64_e32 v[74:75], v[191:192], v[86:87]
	s_delay_alu instid0(VALU_DEP_1) | instskip(SKIP_4) | instid1(VALU_DEP_1)
	v_add_f64_e32 v[64:65], v[201:202], v[74:75]
	scratch_load_b64 v[74:75], off, off offset:452 th:TH_LOAD_LU ; 8-byte Folded Reload
	v_add_f64_e64 v[82:83], v[82:83], -v[84:85]
	scratch_load_b64 v[84:85], off, off offset:1708 th:TH_LOAD_LU ; 8-byte Folded Reload
	v_add_f64_e32 v[64:65], v[205:206], v[64:65]
	v_add_f64_e32 v[56:57], v[164:165], v[64:65]
	;; [unrolled: 1-line block ×3, first 2 shown]
	s_wait_loadcnt 0x1
	v_add_f64_e32 v[72:73], v[74:75], v[72:73]
	scratch_load_b64 v[74:75], off, off offset:1440 th:TH_LOAD_LU ; 8-byte Folded Reload
	s_wait_loadcnt 0x1
	v_add_f64_e32 v[20:21], v[84:85], v[20:21]
	s_wait_loadcnt 0x0
	s_delay_alu instid0(VALU_DEP_1)
	v_add_f64_e32 v[20:21], v[74:75], v[20:21]
	v_mul_f64_e32 v[74:75], s[52:53], v[10:11]
	s_clause 0x2
	scratch_load_b64 v[10:11], off, off offset:420 th:TH_LOAD_LU
	scratch_load_b128 v[4:7], off, off offset:404 th:TH_LOAD_LU
	scratch_load_b64 v[0:1], off, off offset:1120 th:TH_LOAD_LU
	v_add_f64_e32 v[96:97], v[104:105], v[96:97]
	v_add_f64_e32 v[20:21], v[248:249], v[20:21]
	v_fma_f64 v[76:77], v[128:129], s[2:3], v[74:75]
	v_fma_f64 v[74:75], v[128:129], s[2:3], -v[74:75]
	s_delay_alu instid0(VALU_DEP_4)
	v_add_f64_e32 v[34:35], v[96:97], v[44:45]
	s_wait_loadcnt 0x2
	v_add_f64_e64 v[80:81], v[80:81], -v[10:11]
	s_wait_loadcnt 0x0
	v_add_f64_e32 v[70:71], v[0:1], v[6:7]
	scratch_load_b64 v[0:1], off, off offset:1168 th:TH_LOAD_LU ; 8-byte Folded Reload
	v_add_f64_e32 v[10:11], v[8:9], v[32:33]
	v_add_f64_e32 v[32:33], v[82:83], v[46:47]
	;; [unrolled: 1-line block ×8, first 2 shown]
	s_wait_loadcnt 0x0
	v_add_f64_e32 v[78:79], v[0:1], v[4:5]
	v_add_f64_e32 v[4:5], v[76:77], v[28:29]
	;; [unrolled: 1-line block ×4, first 2 shown]
	scratch_load_b128 v[41:44], off, off offset:108 ; 16-byte Folded Reload
	v_add_f64_e32 v[0:1], v[78:79], v[132:133]
	s_wait_loadcnt 0x0
	ds_store_b128 v40, v[41:44] offset:160
	scratch_load_b128 v[41:44], off, off offset:92 ; 16-byte Folded Reload
	s_wait_loadcnt 0x0
	ds_store_b128 v40, v[41:44] offset:176
	scratch_load_b128 v[41:44], off, off offset:76 ; 16-byte Folded Reload
	;; [unrolled: 3-line block ×5, first 2 shown]
	s_wait_loadcnt 0x0
	ds_store_b128 v40, v[41:44] offset:240
	ds_store_b128 v40, v[32:35] offset:32
	;; [unrolled: 1-line block ×10, first 2 shown]
	ds_store_b128 v40, v[0:3]
	scratch_load_b128 v[0:3], off, off offset:12 ; 16-byte Folded Reload
	s_wait_loadcnt 0x0
	ds_store_b128 v40, v[0:3] offset:256
.LBB0_7:
	s_wait_alu 0xfffe
	s_or_b32 exec_lo, exec_lo, s33
	scratch_load_b32 v163, off, off         ; 4-byte Folded Reload
	v_and_b32_e32 v0, 0xff, v190
	global_wb scope:SCOPE_SE
	s_wait_storecnt 0x0
	s_wait_loadcnt_dscnt 0x0
	s_barrier_signal -1
	s_barrier_wait -1
	global_inv scope:SCOPE_SE
	v_mul_lo_u16 v0, 0xf1, v0
	s_mov_b32 s2, 0xe8584caa
	s_mov_b32 s3, 0x3febb67a
	;; [unrolled: 1-line block ×3, first 2 shown]
	s_wait_alu 0xfffe
	s_mov_b32 s8, s2
	v_lshrrev_b16 v49, 12, v0
	s_mov_b32 s30, 0x523c161c
	s_mov_b32 s24, 0xa2cf5039
	;; [unrolled: 1-line block ×4, first 2 shown]
	v_mul_lo_u16 v1, v49, 17
	s_mov_b32 s16, 0x8c811c17
	s_mov_b32 s14, 0x7e0b738b
	;; [unrolled: 1-line block ×4, first 2 shown]
	v_sub_nc_u16 v1, v190, v1
	s_mov_b32 s18, 0xe8584cab
	s_mov_b32 s19, s3
	;; [unrolled: 1-line block ×4, first 2 shown]
	v_and_b32_e32 v50, 0xff, v1
	s_mov_b32 s23, 0x3fd5e3a8
	s_mov_b32 s21, 0xbfee11f6
	;; [unrolled: 1-line block ×3, first 2 shown]
	s_wait_alu 0xfffe
	s_mov_b32 s26, s30
	v_lshlrev_b32_e32 v2, 5, v50
	s_mov_b32 s28, s18
	s_mov_b32 s29, s9
	s_clause 0x1
	global_load_b128 v[67:70], v2, s[0:1]
	global_load_b128 v[71:74], v2, s[0:1] offset:16
	v_and_b32_e32 v0, 0xff, v163
	v_add_co_u32 v144, null, 0x66, v163
	v_add_co_u32 v145, null, 0x99, v163
	s_delay_alu instid0(VALU_DEP_3) | instskip(NEXT) | instid1(VALU_DEP_3)
	v_mul_lo_u16 v0, 0xf1, v0
	v_and_b32_e32 v48, 0xff, v144
	v_add_co_u32 v146, null, 0xcc, v163
	v_add_co_u32 v147, null, 0xff, v163
	s_delay_alu instid0(VALU_DEP_4) | instskip(NEXT) | instid1(VALU_DEP_4)
	v_lshrrev_b16 v51, 12, v0
	v_mul_lo_u16 v1, 0xf1, v48
	s_delay_alu instid0(VALU_DEP_4) | instskip(SKIP_1) | instid1(VALU_DEP_4)
	v_and_b32_e32 v2, 0xff, v146
	v_add_co_u32 v148, null, 0x132, v163
	v_mul_lo_u16 v0, v51, 17
	s_delay_alu instid0(VALU_DEP_4) | instskip(SKIP_2) | instid1(VALU_DEP_4)
	v_lshrrev_b16 v53, 12, v1
	v_add_co_u32 v149, null, 0x165, v163
	v_add_co_u32 v150, null, 0x198, v163
	v_sub_nc_u16 v52, v163, v0
	s_delay_alu instid0(VALU_DEP_4) | instskip(NEXT) | instid1(VALU_DEP_2)
	v_mul_lo_u16 v1, v53, 17
	v_lshlrev_b16 v0, 1, v52
	s_delay_alu instid0(VALU_DEP_2) | instskip(NEXT) | instid1(VALU_DEP_2)
	v_sub_nc_u16 v1, v144, v1
	v_and_b32_e32 v0, 0xfe, v0
	s_delay_alu instid0(VALU_DEP_2) | instskip(NEXT) | instid1(VALU_DEP_2)
	v_and_b32_e32 v54, 0xff, v1
	v_lshlrev_b32_e32 v0, 4, v0
	s_delay_alu instid0(VALU_DEP_2)
	v_lshlrev_b32_e32 v1, 5, v54
	s_clause 0x1
	global_load_b128 v[81:84], v0, s[0:1]
	global_load_b128 v[77:80], v0, s[0:1] offset:16
	v_and_b32_e32 v0, 0xff, v145
	s_clause 0x1
	global_load_b128 v[85:88], v1, s[0:1]
	global_load_b128 v[89:92], v1, s[0:1] offset:16
	v_mul_lo_u16 v0, 0xf1, v0
	s_delay_alu instid0(VALU_DEP_1) | instskip(SKIP_1) | instid1(VALU_DEP_2)
	v_lshrrev_b16 v55, 12, v0
	v_mul_lo_u16 v0, 0xf1, v2
	v_mul_lo_u16 v2, v55, 17
	s_delay_alu instid0(VALU_DEP_2) | instskip(NEXT) | instid1(VALU_DEP_2)
	v_lshrrev_b16 v56, 12, v0
	v_sub_nc_u16 v0, v145, v2
	s_delay_alu instid0(VALU_DEP_2) | instskip(NEXT) | instid1(VALU_DEP_2)
	v_mul_lo_u16 v1, v56, 17
	v_and_b32_e32 v57, 0xff, v0
	s_delay_alu instid0(VALU_DEP_2) | instskip(NEXT) | instid1(VALU_DEP_2)
	v_sub_nc_u16 v0, v146, v1
	v_lshlrev_b32_e32 v1, 5, v57
	s_delay_alu instid0(VALU_DEP_2)
	v_and_b32_e32 v58, 0xff, v0
	global_load_b128 v[93:96], v1, s[0:1]
	v_lshlrev_b32_e32 v0, 5, v58
	s_clause 0x2
	global_load_b128 v[97:100], v1, s[0:1] offset:16
	global_load_b128 v[105:108], v0, s[0:1]
	global_load_b128 v[109:112], v0, s[0:1] offset:16
	ds_load_b128 v[12:15], v255 offset:8160
	ds_load_b128 v[8:11], v255 offset:15504
	;; [unrolled: 1-line block ×9, first 2 shown]
	s_wait_loadcnt 0x9
	scratch_store_b128 off, v[67:70], off offset:420 ; 16-byte Folded Spill
	s_wait_loadcnt 0x8
	scratch_store_b128 off, v[71:74], off offset:436 ; 16-byte Folded Spill
	s_wait_dscnt 0x8
	v_mul_f64_e32 v[32:33], v[14:15], v[69:70]
	v_mul_f64_e32 v[34:35], v[12:13], v[69:70]
	s_wait_dscnt 0x7
	v_mul_f64_e32 v[36:37], v[10:11], v[73:74]
	v_mul_f64_e32 v[38:39], v[8:9], v[73:74]
	s_delay_alu instid0(VALU_DEP_4) | instskip(NEXT) | instid1(VALU_DEP_4)
	v_fma_f64 v[12:13], v[12:13], v[67:68], -v[32:33]
	v_fma_f64 v[14:15], v[14:15], v[67:68], v[34:35]
	s_delay_alu instid0(VALU_DEP_4) | instskip(NEXT) | instid1(VALU_DEP_4)
	v_fma_f64 v[67:68], v[8:9], v[71:72], -v[36:37]
	v_fma_f64 v[69:70], v[10:11], v[71:72], v[38:39]
	ds_load_b128 v[8:11], v255 offset:10608
	s_wait_loadcnt_dscnt 0x707
	v_mul_f64_e32 v[40:41], v[6:7], v[83:84]
	v_mul_f64_e32 v[42:43], v[4:5], v[83:84]
	s_wait_loadcnt_dscnt 0x606
	v_mul_f64_e32 v[44:45], v[2:3], v[79:80]
	v_mul_f64_e32 v[46:47], v[0:1], v[79:80]
	;; [unrolled: 3-line block ×4, first 2 shown]
	s_clause 0x3
	scratch_store_b128 off, v[81:84], off offset:484
	scratch_store_b128 off, v[77:80], off offset:468
	;; [unrolled: 1-line block ×4, first 2 shown]
	s_wait_loadcnt 0x3
	scratch_store_b128 off, v[93:96], off offset:532 ; 16-byte Folded Spill
	v_fma_f64 v[71:72], v[4:5], v[81:82], -v[40:41]
	v_fma_f64 v[73:74], v[6:7], v[81:82], v[42:43]
	s_wait_loadcnt 0x2
	scratch_store_b128 off, v[97:100], off offset:548 ; 16-byte Folded Spill
	v_fma_f64 v[75:76], v[0:1], v[77:78], -v[44:45]
	v_fma_f64 v[77:78], v[2:3], v[77:78], v[46:47]
	v_fma_f64 v[79:80], v[16:17], v[85:86], -v[63:64]
	v_fma_f64 v[81:82], v[18:19], v[85:86], v[65:66]
	ds_load_b128 v[0:3], v255 offset:17952
	s_wait_loadcnt_dscnt 0x101
	v_mul_f64_e32 v[16:17], v[10:11], v[107:108]
	v_mul_f64_e32 v[18:19], v[8:9], v[107:108]
	v_fma_f64 v[85:86], v[22:23], v[89:90], v[34:35]
	v_and_b32_e32 v22, 0xffff, v147
	v_mul_f64_e32 v[4:5], v[26:27], v[95:96]
	v_mul_f64_e32 v[6:7], v[24:25], v[95:96]
	;; [unrolled: 1-line block ×3, first 2 shown]
	v_fma_f64 v[83:84], v[20:21], v[89:90], -v[32:33]
	scratch_store_b128 off, v[105:108], off offset:580 ; 16-byte Folded Spill
	s_wait_loadcnt 0x0
	scratch_store_b128 off, v[109:112], off offset:564 ; 16-byte Folded Spill
	v_mul_f64_e32 v[38:39], v[28:29], v[99:100]
	v_add_f64_e64 v[65:66], v[12:13], -v[67:68]
	s_wait_dscnt 0x0
	v_mul_f64_e32 v[20:21], v[2:3], v[111:112]
	v_fma_f64 v[103:104], v[8:9], v[105:106], -v[16:17]
	v_fma_f64 v[105:106], v[10:11], v[105:106], v[18:19]
	v_mul_u32_u24_e32 v10, 0xf0f1, v22
	v_mul_f64_e32 v[8:9], v[0:1], v[111:112]
	v_fma_f64 v[87:88], v[24:25], v[93:94], -v[4:5]
	v_fma_f64 v[89:90], v[26:27], v[93:94], v[6:7]
	ds_load_b128 v[4:7], v255 offset:18768
	v_lshrrev_b32_e32 v16, 20, v10
	v_fma_f64 v[91:92], v[28:29], v[97:98], -v[36:37]
	v_add_f64_e32 v[95:96], v[79:80], v[83:84]
	v_fma_f64 v[93:94], v[30:31], v[97:98], v[38:39]
	v_add_f64_e32 v[97:98], v[81:82], v[85:86]
	v_mul_lo_u16 v10, v16, 17
	s_delay_alu instid0(VALU_DEP_1) | instskip(SKIP_1) | instid1(VALU_DEP_2)
	v_sub_nc_u16 v17, v147, v10
	v_fma_f64 v[107:108], v[0:1], v[109:110], -v[20:21]
	v_lshlrev_b16 v10, 1, v17
	s_delay_alu instid0(VALU_DEP_1) | instskip(NEXT) | instid1(VALU_DEP_1)
	v_and_b32_e32 v10, 0xffff, v10
	v_lshlrev_b32_e32 v10, 4, v10
	s_clause 0x1
	global_load_b128 v[26:29], v10, s[0:1]
	global_load_b128 v[18:21], v10, s[0:1] offset:16
	v_fma_f64 v[109:110], v[2:3], v[109:110], v[8:9]
	ds_load_b128 v[0:3], v255 offset:11424
	ds_load_b128 v[8:11], v255 offset:12240
	v_add_f64_e32 v[119:120], v[103:104], v[107:108]
	v_add_f64_e32 v[121:122], v[105:106], v[109:110]
	s_wait_loadcnt_dscnt 0x101
	v_mul_f64_e32 v[24:25], v[2:3], v[28:29]
	scratch_store_b128 off, v[26:29], off offset:1200 ; 16-byte Folded Spill
	s_wait_loadcnt 0x0
	scratch_store_b128 off, v[18:21], off offset:1184 ; 16-byte Folded Spill
	v_fma_f64 v[111:112], v[0:1], v[26:27], -v[24:25]
	v_mul_f64_e32 v[0:1], v[0:1], v[28:29]
	s_delay_alu instid0(VALU_DEP_1) | instskip(SKIP_1) | instid1(VALU_DEP_1)
	v_fma_f64 v[113:114], v[2:3], v[26:27], v[0:1]
	v_mul_f64_e32 v[0:1], v[6:7], v[20:21]
	v_fma_f64 v[115:116], v[4:5], v[18:19], -v[0:1]
	v_mul_f64_e32 v[0:1], v[4:5], v[20:21]
	s_delay_alu instid0(VALU_DEP_1) | instskip(SKIP_1) | instid1(VALU_DEP_1)
	v_fma_f64 v[117:118], v[6:7], v[18:19], v[0:1]
	v_and_b32_e32 v0, 0xffff, v148
	v_mul_u32_u24_e32 v0, 0xf0f1, v0
	s_delay_alu instid0(VALU_DEP_1) | instskip(NEXT) | instid1(VALU_DEP_1)
	v_lshrrev_b32_e32 v18, 20, v0
	v_mul_lo_u16 v0, v18, 17
	s_delay_alu instid0(VALU_DEP_1) | instskip(NEXT) | instid1(VALU_DEP_1)
	v_sub_nc_u16 v19, v148, v0
	v_lshlrev_b16 v0, 1, v19
	s_delay_alu instid0(VALU_DEP_1) | instskip(NEXT) | instid1(VALU_DEP_1)
	v_and_b32_e32 v0, 0xffff, v0
	v_lshlrev_b32_e32 v0, 4, v0
	s_clause 0x1
	global_load_b128 v[2:5], v0, s[0:1]
	global_load_b128 v[20:23], v0, s[0:1] offset:16
	s_wait_loadcnt_dscnt 0x100
	v_mul_f64_e32 v[0:1], v[10:11], v[4:5]
	scratch_store_b128 off, v[2:5], off offset:1232 ; 16-byte Folded Spill
	v_fma_f64 v[127:128], v[8:9], v[2:3], -v[0:1]
	v_mul_f64_e32 v[0:1], v[8:9], v[4:5]
	s_delay_alu instid0(VALU_DEP_1)
	v_fma_f64 v[129:130], v[10:11], v[2:3], v[0:1]
	ds_load_b128 v[0:3], v255 offset:19584
	ds_load_b128 v[4:7], v255 offset:20400
	s_wait_loadcnt 0x0
	scratch_store_b128 off, v[20:23], off offset:1216 ; 16-byte Folded Spill
	s_wait_dscnt 0x1
	v_mul_f64_e32 v[8:9], v[2:3], v[22:23]
	s_delay_alu instid0(VALU_DEP_1) | instskip(SKIP_1) | instid1(VALU_DEP_2)
	v_fma_f64 v[131:132], v[0:1], v[20:21], -v[8:9]
	v_mul_f64_e32 v[0:1], v[0:1], v[22:23]
	v_add_f64_e32 v[159:160], v[127:128], v[131:132]
	s_delay_alu instid0(VALU_DEP_2) | instskip(SKIP_1) | instid1(VALU_DEP_1)
	v_fma_f64 v[133:134], v[2:3], v[20:21], v[0:1]
	v_and_b32_e32 v0, 0xffff, v149
	v_mul_u32_u24_e32 v0, 0xf0f1, v0
	s_delay_alu instid0(VALU_DEP_1) | instskip(NEXT) | instid1(VALU_DEP_1)
	v_lshrrev_b32_e32 v20, 20, v0
	v_mul_lo_u16 v0, v20, 17
	s_delay_alu instid0(VALU_DEP_1) | instskip(NEXT) | instid1(VALU_DEP_1)
	v_sub_nc_u16 v21, v149, v0
	v_lshlrev_b16 v0, 1, v21
	s_delay_alu instid0(VALU_DEP_1) | instskip(NEXT) | instid1(VALU_DEP_1)
	v_and_b32_e32 v0, 0xffff, v0
	v_lshlrev_b32_e32 v0, 4, v0
	s_clause 0x1
	global_load_b128 v[26:29], v0, s[0:1]
	global_load_b128 v[22:25], v0, s[0:1] offset:16
	ds_load_b128 v[0:3], v255 offset:13056
	ds_load_b128 v[8:11], v255 offset:13872
	v_add_f64_e32 v[161:162], v[129:130], v[133:134]
	s_wait_loadcnt_dscnt 0x101
	v_mul_f64_e32 v[40:41], v[2:3], v[28:29]
	scratch_store_b128 off, v[26:29], off offset:1264 ; 16-byte Folded Spill
	s_wait_loadcnt 0x0
	scratch_store_b128 off, v[22:25], off offset:1248 ; 16-byte Folded Spill
	v_fma_f64 v[135:136], v[0:1], v[26:27], -v[40:41]
	v_mul_f64_e32 v[0:1], v[0:1], v[28:29]
	s_delay_alu instid0(VALU_DEP_1) | instskip(SKIP_1) | instid1(VALU_DEP_1)
	v_fma_f64 v[137:138], v[2:3], v[26:27], v[0:1]
	v_mul_f64_e32 v[0:1], v[6:7], v[24:25]
	v_fma_f64 v[139:140], v[4:5], v[22:23], -v[0:1]
	v_mul_f64_e32 v[0:1], v[4:5], v[24:25]
	s_delay_alu instid0(VALU_DEP_1) | instskip(SKIP_1) | instid1(VALU_DEP_1)
	v_fma_f64 v[141:142], v[6:7], v[22:23], v[0:1]
	v_and_b32_e32 v0, 0xffff, v150
	v_mul_u32_u24_e32 v0, 0xf0f1, v0
	s_delay_alu instid0(VALU_DEP_1) | instskip(NEXT) | instid1(VALU_DEP_1)
	v_lshrrev_b32_e32 v22, 20, v0
	v_mul_lo_u16 v0, v22, 17
	s_delay_alu instid0(VALU_DEP_1) | instskip(NEXT) | instid1(VALU_DEP_1)
	v_sub_nc_u16 v23, v150, v0
	v_lshlrev_b16 v0, 1, v23
	s_delay_alu instid0(VALU_DEP_1) | instskip(NEXT) | instid1(VALU_DEP_1)
	v_and_b32_e32 v0, 0xffff, v0
	v_lshlrev_b32_e32 v0, 4, v0
	s_clause 0x1
	global_load_b128 v[2:5], v0, s[0:1]
	global_load_b128 v[24:27], v0, s[0:1] offset:16
	s_wait_loadcnt_dscnt 0x100
	v_mul_f64_e32 v[0:1], v[10:11], v[4:5]
	scratch_store_b128 off, v[2:5], off offset:1296 ; 16-byte Folded Spill
	s_wait_loadcnt 0x0
	scratch_store_b128 off, v[24:27], off offset:1280 ; 16-byte Folded Spill
	v_fma_f64 v[151:152], v[8:9], v[2:3], -v[0:1]
	v_mul_f64_e32 v[0:1], v[8:9], v[4:5]
	v_add_f64_e32 v[8:9], v[12:13], v[67:68]
	s_delay_alu instid0(VALU_DEP_2) | instskip(SKIP_3) | instid1(VALU_DEP_1)
	v_fma_f64 v[153:154], v[10:11], v[2:3], v[0:1]
	ds_load_b128 v[0:3], v255 offset:21216
	s_wait_dscnt 0x0
	v_mul_f64_e32 v[4:5], v[2:3], v[26:27]
	v_fma_f64 v[155:156], v[0:1], v[24:25], -v[4:5]
	v_mul_f64_e32 v[0:1], v[0:1], v[26:27]
	s_delay_alu instid0(VALU_DEP_1) | instskip(SKIP_3) | instid1(VALU_DEP_1)
	v_fma_f64 v[157:158], v[2:3], v[24:25], v[0:1]
	ds_load_b128 v[0:3], v255 offset:816
	ds_load_b128 v[4:7], v255
	v_mad_u16 v24, v51, 51, v52
	v_and_b32_e32 v24, 0xff, v24
	s_delay_alu instid0(VALU_DEP_1) | instskip(SKIP_4) | instid1(VALU_DEP_2)
	v_lshlrev_b32_e32 v24, 4, v24
	s_wait_dscnt 0x1
	v_fma_f64 v[10:11], v[8:9], -0.5, v[0:1]
	v_add_f64_e32 v[8:9], v[14:15], v[69:70]
	v_add_f64_e32 v[0:1], v[0:1], v[12:13]
	v_fma_f64 v[63:64], v[8:9], -0.5, v[2:3]
	v_add_f64_e32 v[2:3], v[2:3], v[14:15]
	v_add_f64_e64 v[14:15], v[14:15], -v[69:70]
	s_delay_alu instid0(VALU_DEP_4) | instskip(SKIP_1) | instid1(VALU_DEP_4)
	v_add_f64_e32 v[0:1], v[0:1], v[67:68]
	v_add_f64_e64 v[67:68], v[73:74], -v[77:78]
	v_add_f64_e32 v[2:3], v[2:3], v[69:70]
	s_delay_alu instid0(VALU_DEP_4)
	v_fma_f64 v[8:9], v[14:15], s[2:3], v[10:11]
	v_fma_f64 v[12:13], v[14:15], s[8:9], v[10:11]
	;; [unrolled: 1-line block ×4, first 2 shown]
	v_add_f64_e32 v[63:64], v[71:72], v[75:76]
	s_wait_dscnt 0x0
	s_delay_alu instid0(VALU_DEP_1) | instskip(SKIP_3) | instid1(VALU_DEP_3)
	v_fma_f64 v[65:66], v[63:64], -0.5, v[4:5]
	v_add_f64_e32 v[63:64], v[73:74], v[77:78]
	v_add_f64_e32 v[4:5], v[4:5], v[71:72]
	v_add_f64_e64 v[71:72], v[71:72], -v[75:76]
	v_fma_f64 v[69:70], v[63:64], -0.5, v[6:7]
	v_add_f64_e32 v[6:7], v[6:7], v[73:74]
	s_delay_alu instid0(VALU_DEP_4)
	v_add_f64_e32 v[4:5], v[4:5], v[75:76]
	v_fma_f64 v[63:64], v[67:68], s[2:3], v[65:66]
	v_fma_f64 v[67:68], v[67:68], s[8:9], v[65:66]
	;; [unrolled: 1-line block ×3, first 2 shown]
	v_add_f64_e32 v[6:7], v[6:7], v[77:78]
	v_fma_f64 v[69:70], v[71:72], s[2:3], v[69:70]
	ds_load_b128 v[71:74], v255 offset:1632
	ds_load_b128 v[75:78], v255 offset:2448
	s_wait_dscnt 0x1
	v_fma_f64 v[97:98], v[97:98], -0.5, v[73:74]
	v_add_f64_e32 v[73:74], v[73:74], v[81:82]
	v_fma_f64 v[95:96], v[95:96], -0.5, v[71:72]
	v_add_f64_e32 v[71:72], v[71:72], v[79:80]
	v_add_f64_e64 v[81:82], v[81:82], -v[85:86]
	s_delay_alu instid0(VALU_DEP_4) | instskip(SKIP_1) | instid1(VALU_DEP_4)
	v_add_f64_e32 v[73:74], v[73:74], v[85:86]
	v_add_f64_e64 v[85:86], v[79:80], -v[83:84]
	v_add_f64_e32 v[71:72], v[71:72], v[83:84]
	s_delay_alu instid0(VALU_DEP_4)
	v_fma_f64 v[79:80], v[81:82], s[2:3], v[95:96]
	v_fma_f64 v[83:84], v[81:82], s[8:9], v[95:96]
	v_add_f64_e32 v[95:96], v[87:88], v[91:92]
	v_fma_f64 v[81:82], v[85:86], s[8:9], v[97:98]
	v_fma_f64 v[85:86], v[85:86], s[2:3], v[97:98]
	v_add_f64_e32 v[97:98], v[89:90], v[93:94]
	s_wait_dscnt 0x0
	s_delay_alu instid0(VALU_DEP_4) | instskip(SKIP_1) | instid1(VALU_DEP_3)
	v_fma_f64 v[95:96], v[95:96], -0.5, v[75:76]
	v_add_f64_e32 v[75:76], v[75:76], v[87:88]
	v_fma_f64 v[97:98], v[97:98], -0.5, v[77:78]
	v_add_f64_e32 v[77:78], v[77:78], v[89:90]
	v_add_f64_e64 v[89:90], v[89:90], -v[93:94]
	s_delay_alu instid0(VALU_DEP_4) | instskip(NEXT) | instid1(VALU_DEP_3)
	v_add_f64_e32 v[75:76], v[75:76], v[91:92]
	v_add_f64_e32 v[77:78], v[77:78], v[93:94]
	v_add_f64_e64 v[93:94], v[87:88], -v[91:92]
	s_delay_alu instid0(VALU_DEP_4) | instskip(SKIP_1) | instid1(VALU_DEP_3)
	v_fma_f64 v[87:88], v[89:90], s[2:3], v[95:96]
	v_fma_f64 v[91:92], v[89:90], s[8:9], v[95:96]
	;; [unrolled: 1-line block ×4, first 2 shown]
	ds_load_b128 v[95:98], v255 offset:3264
	ds_load_b128 v[99:102], v255 offset:4080
	s_wait_dscnt 0x1
	v_fma_f64 v[121:122], v[121:122], -0.5, v[97:98]
	v_add_f64_e32 v[97:98], v[97:98], v[105:106]
	v_fma_f64 v[119:120], v[119:120], -0.5, v[95:96]
	v_add_f64_e32 v[95:96], v[95:96], v[103:104]
	v_add_f64_e64 v[105:106], v[105:106], -v[109:110]
	s_delay_alu instid0(VALU_DEP_4) | instskip(SKIP_1) | instid1(VALU_DEP_4)
	v_add_f64_e32 v[97:98], v[97:98], v[109:110]
	v_add_f64_e64 v[109:110], v[103:104], -v[107:108]
	v_add_f64_e32 v[95:96], v[95:96], v[107:108]
	s_delay_alu instid0(VALU_DEP_4)
	v_fma_f64 v[103:104], v[105:106], s[2:3], v[119:120]
	v_fma_f64 v[107:108], v[105:106], s[8:9], v[119:120]
	v_add_f64_e32 v[119:120], v[111:112], v[115:116]
	v_fma_f64 v[105:106], v[109:110], s[8:9], v[121:122]
	v_fma_f64 v[109:110], v[109:110], s[2:3], v[121:122]
	v_add_f64_e32 v[121:122], v[113:114], v[117:118]
	s_wait_dscnt 0x0
	s_delay_alu instid0(VALU_DEP_4) | instskip(SKIP_1) | instid1(VALU_DEP_3)
	v_fma_f64 v[119:120], v[119:120], -0.5, v[99:100]
	v_add_f64_e32 v[99:100], v[99:100], v[111:112]
	v_fma_f64 v[121:122], v[121:122], -0.5, v[101:102]
	v_add_f64_e32 v[101:102], v[101:102], v[113:114]
	v_add_f64_e64 v[113:114], v[113:114], -v[117:118]
	s_delay_alu instid0(VALU_DEP_4) | instskip(NEXT) | instid1(VALU_DEP_3)
	v_add_f64_e32 v[99:100], v[99:100], v[115:116]
	v_add_f64_e32 v[101:102], v[101:102], v[117:118]
	v_add_f64_e64 v[117:118], v[111:112], -v[115:116]
	s_delay_alu instid0(VALU_DEP_4) | instskip(SKIP_1) | instid1(VALU_DEP_3)
	v_fma_f64 v[111:112], v[113:114], s[2:3], v[119:120]
	v_fma_f64 v[115:116], v[113:114], s[8:9], v[119:120]
	;; [unrolled: 1-line block ×4, first 2 shown]
	ds_load_b128 v[119:122], v255 offset:4896
	ds_load_b128 v[123:126], v255 offset:5712
	global_wb scope:SCOPE_SE
	s_wait_storecnt_dscnt 0x0
	s_barrier_signal -1
	s_barrier_wait -1
	global_inv scope:SCOPE_SE
	ds_store_b128 v24, v[4:7]
	ds_store_b128 v24, v[63:66] offset:272
	v_and_b32_e32 v4, 0xffff, v49
	scratch_store_b32 off, v24, off offset:1176 ; 4-byte Folded Spill
	ds_store_b128 v24, v[67:70] offset:544
	v_mul_u32_u24_e32 v4, 51, v4
	s_delay_alu instid0(VALU_DEP_1)
	v_add_lshl_u32 v4, v4, v50, 4
	ds_store_b128 v4, v[0:3]
	ds_store_b128 v4, v[8:11] offset:272
	v_fma_f64 v[161:162], v[161:162], -0.5, v[121:122]
	v_add_f64_e32 v[121:122], v[121:122], v[129:130]
	v_fma_f64 v[159:160], v[159:160], -0.5, v[119:120]
	v_add_f64_e32 v[119:120], v[119:120], v[127:128]
	v_add_f64_e64 v[129:130], v[129:130], -v[133:134]
	v_and_b32_e32 v0, 0xffff, v53
	scratch_store_b32 off, v4, off offset:1168 ; 4-byte Folded Spill
	ds_store_b128 v4, v[12:15] offset:544
	v_lshlrev_b32_e32 v8, 7, v163
	v_mul_u32_u24_e32 v0, 51, v0
	s_delay_alu instid0(VALU_DEP_1)
	v_add_lshl_u32 v0, v0, v54, 4
	ds_store_b128 v0, v[71:74]
	ds_store_b128 v0, v[79:82] offset:272
	scratch_store_b32 off, v0, off offset:1160 ; 4-byte Folded Spill
	ds_store_b128 v0, v[83:86] offset:544
	v_and_b32_e32 v0, 0xffff, v55
	s_delay_alu instid0(VALU_DEP_1) | instskip(NEXT) | instid1(VALU_DEP_1)
	v_mul_u32_u24_e32 v0, 51, v0
	v_add_lshl_u32 v0, v0, v57, 4
	ds_store_b128 v0, v[75:78]
	ds_store_b128 v0, v[87:90] offset:272
	v_add_f64_e32 v[121:122], v[121:122], v[133:134]
	v_add_f64_e64 v[133:134], v[127:128], -v[131:132]
	v_add_f64_e32 v[119:120], v[119:120], v[131:132]
	v_fma_f64 v[127:128], v[129:130], s[2:3], v[159:160]
	v_fma_f64 v[131:132], v[129:130], s[8:9], v[159:160]
	v_add_f64_e32 v[159:160], v[135:136], v[139:140]
	scratch_store_b32 off, v0, off offset:1152 ; 4-byte Folded Spill
	ds_store_b128 v0, v[91:94] offset:544
	v_and_b32_e32 v0, 0xffff, v56
	s_delay_alu instid0(VALU_DEP_1) | instskip(NEXT) | instid1(VALU_DEP_1)
	v_mul_u32_u24_e32 v0, 51, v0
	v_add_lshl_u32 v0, v0, v58, 4
	ds_store_b128 v0, v[95:98]
	ds_store_b128 v0, v[103:106] offset:272
	scratch_store_b32 off, v0, off offset:1144 ; 4-byte Folded Spill
	ds_store_b128 v0, v[107:110] offset:544
	v_mad_u16 v0, v16, 51, v17
	s_delay_alu instid0(VALU_DEP_1) | instskip(NEXT) | instid1(VALU_DEP_1)
	v_and_b32_e32 v0, 0xffff, v0
	v_lshlrev_b32_e32 v0, 4, v0
	ds_store_b128 v0, v[99:102]
	ds_store_b128 v0, v[111:114] offset:272
	v_fma_f64 v[129:130], v[133:134], s[8:9], v[161:162]
	v_fma_f64 v[133:134], v[133:134], s[2:3], v[161:162]
	v_add_f64_e32 v[161:162], v[137:138], v[141:142]
	v_fma_f64 v[159:160], v[159:160], -0.5, v[123:124]
	v_add_f64_e32 v[123:124], v[123:124], v[135:136]
	scratch_store_b32 off, v0, off offset:1136 ; 4-byte Folded Spill
	ds_store_b128 v0, v[115:118] offset:544
	v_mad_u16 v0, v18, 51, v19
	s_delay_alu instid0(VALU_DEP_1) | instskip(NEXT) | instid1(VALU_DEP_1)
	v_and_b32_e32 v0, 0xffff, v0
	v_lshlrev_b32_e32 v0, 4, v0
	ds_store_b128 v0, v[119:122]
	ds_store_b128 v0, v[127:130] offset:272
	scratch_store_b32 off, v0, off offset:872 ; 4-byte Folded Spill
	ds_store_b128 v0, v[131:134] offset:544
	v_fma_f64 v[161:162], v[161:162], -0.5, v[125:126]
	v_add_f64_e32 v[125:126], v[125:126], v[137:138]
	v_add_f64_e64 v[137:138], v[137:138], -v[141:142]
	v_add_f64_e32 v[123:124], v[123:124], v[139:140]
	v_mad_u16 v0, v20, 51, v21
	s_delay_alu instid0(VALU_DEP_1) | instskip(NEXT) | instid1(VALU_DEP_1)
	v_and_b32_e32 v0, 0xffff, v0
	v_lshlrev_b32_e32 v1, 4, v0
	v_mad_u16 v0, v22, 51, v23
	scratch_store_b32 off, v1, off offset:864 ; 4-byte Folded Spill
	v_and_b32_e32 v0, 0xffff, v0
	s_delay_alu instid0(VALU_DEP_1)
	v_lshlrev_b32_e32 v0, 4, v0
	v_add_f64_e32 v[125:126], v[125:126], v[141:142]
	v_add_f64_e64 v[141:142], v[135:136], -v[139:140]
	v_fma_f64 v[135:136], v[137:138], s[2:3], v[159:160]
	v_fma_f64 v[139:140], v[137:138], s[8:9], v[159:160]
	v_add_f64_e32 v[159:160], v[151:152], v[155:156]
	s_delay_alu instid0(VALU_DEP_4) | instskip(SKIP_2) | instid1(VALU_DEP_4)
	v_fma_f64 v[137:138], v[141:142], s[8:9], v[161:162]
	v_fma_f64 v[141:142], v[141:142], s[2:3], v[161:162]
	v_add_f64_e32 v[161:162], v[153:154], v[157:158]
	v_fma_f64 v[159:160], v[159:160], -0.5, v[59:60]
	v_add_f64_e32 v[59:60], v[59:60], v[151:152]
	ds_store_b128 v1, v[123:126]
	ds_store_b128 v1, v[135:138] offset:272
	v_fma_f64 v[161:162], v[161:162], -0.5, v[61:62]
	v_add_f64_e32 v[61:62], v[61:62], v[153:154]
	v_add_f64_e64 v[153:154], v[153:154], -v[157:158]
	v_add_f64_e32 v[59:60], v[59:60], v[155:156]
	s_delay_alu instid0(VALU_DEP_3) | instskip(SKIP_1) | instid1(VALU_DEP_4)
	v_add_f64_e32 v[61:62], v[61:62], v[157:158]
	v_add_f64_e64 v[157:158], v[151:152], -v[155:156]
	v_fma_f64 v[151:152], v[153:154], s[2:3], v[159:160]
	v_fma_f64 v[155:156], v[153:154], s[8:9], v[159:160]
	s_delay_alu instid0(VALU_DEP_3)
	v_fma_f64 v[153:154], v[157:158], s[8:9], v[161:162]
	v_fma_f64 v[157:158], v[157:158], s[2:3], v[161:162]
	ds_store_b128 v1, v[139:142] offset:544
	ds_store_b128 v0, v[59:62]
	ds_store_b128 v0, v[151:154] offset:272
	scratch_store_b32 off, v0, off offset:856 ; 4-byte Folded Spill
	ds_store_b128 v0, v[155:158] offset:544
	global_wb scope:SCOPE_SE
	s_wait_storecnt_dscnt 0x0
	s_barrier_signal -1
	s_barrier_wait -1
	global_inv scope:SCOPE_SE
	s_clause 0x1
	global_load_b128 v[15:18], v8, s[0:1] offset:544
	global_load_b128 v[19:22], v8, s[0:1] offset:560
	ds_load_b128 v[4:7], v255 offset:2448
	ds_load_b128 v[0:3], v255 offset:1632
	s_wait_loadcnt_dscnt 0x101
	v_mul_f64_e32 v[9:10], v[6:7], v[17:18]
	v_mul_f64_e32 v[11:12], v[4:5], v[17:18]
	s_delay_alu instid0(VALU_DEP_2) | instskip(NEXT) | instid1(VALU_DEP_2)
	v_fma_f64 v[88:89], v[4:5], v[15:16], -v[9:10]
	v_fma_f64 v[142:143], v[6:7], v[15:16], v[11:12]
	ds_load_b128 v[4:7], v255 offset:4896
	ds_load_b128 v[9:12], v255 offset:5712
	s_clause 0x1
	global_load_b128 v[43:46], v8, s[0:1] offset:576
	global_load_b128 v[35:38], v8, s[0:1] offset:592
	s_wait_loadcnt_dscnt 0x201
	v_mul_f64_e32 v[13:14], v[6:7], v[21:22]
	s_delay_alu instid0(VALU_DEP_1) | instskip(SKIP_1) | instid1(VALU_DEP_1)
	v_fma_f64 v[180:181], v[4:5], v[19:20], -v[13:14]
	v_mul_f64_e32 v[4:5], v[4:5], v[21:22]
	v_fma_f64 v[182:183], v[6:7], v[19:20], v[4:5]
	ds_load_b128 v[4:7], v255 offset:7344
	ds_load_b128 v[49:52], v255 offset:6528
	s_wait_loadcnt_dscnt 0x101
	v_mul_f64_e32 v[13:14], v[6:7], v[45:46]
	s_delay_alu instid0(VALU_DEP_1) | instskip(SKIP_1) | instid1(VALU_DEP_1)
	v_fma_f64 v[122:123], v[4:5], v[43:44], -v[13:14]
	v_mul_f64_e32 v[4:5], v[4:5], v[45:46]
	v_fma_f64 v[124:125], v[6:7], v[43:44], v[4:5]
	ds_load_b128 v[4:7], v255 offset:9792
	ds_load_b128 v[53:56], v255 offset:10608
	s_clause 0x1
	global_load_b128 v[39:42], v8, s[0:1] offset:608
	global_load_b128 v[27:30], v8, s[0:1] offset:624
	s_wait_loadcnt_dscnt 0x201
	v_mul_f64_e32 v[13:14], v[6:7], v[37:38]
	s_delay_alu instid0(VALU_DEP_1) | instskip(SKIP_1) | instid1(VALU_DEP_1)
	v_fma_f64 v[126:127], v[4:5], v[35:36], -v[13:14]
	v_mul_f64_e32 v[4:5], v[4:5], v[37:38]
	v_fma_f64 v[132:133], v[6:7], v[35:36], v[4:5]
	ds_load_b128 v[4:7], v255 offset:12240
	ds_load_b128 v[57:60], v255 offset:11424
	s_wait_loadcnt_dscnt 0x101
	v_mul_f64_e32 v[13:14], v[6:7], v[41:42]
	s_delay_alu instid0(VALU_DEP_1) | instskip(SKIP_1) | instid1(VALU_DEP_1)
	v_fma_f64 v[128:129], v[4:5], v[39:40], -v[13:14]
	v_mul_f64_e32 v[4:5], v[4:5], v[41:42]
	;; [unrolled: 19-line block ×3, first 2 shown]
	v_fma_f64 v[186:187], v[6:7], v[31:32], v[4:5]
	ds_load_b128 v[4:7], v255 offset:19584
	ds_load_b128 v[80:83], v255 offset:20400
	s_wait_loadcnt_dscnt 0x1
	v_mul_f64_e32 v[13:14], v[6:7], v[25:26]
	s_delay_alu instid0(VALU_DEP_1) | instskip(SKIP_1) | instid1(VALU_DEP_1)
	v_fma_f64 v[188:189], v[4:5], v[23:24], -v[13:14]
	v_mul_f64_e32 v[4:5], v[4:5], v[25:26]
	v_fma_f64 v[191:192], v[6:7], v[23:24], v[4:5]
	ds_load_b128 v[4:7], v255 offset:3264
	ds_load_b128 v[84:87], v255 offset:4080
	s_clause 0x1
	scratch_store_b128 off, v[15:18], off offset:404
	scratch_store_b128 off, v[19:22], off offset:452
	s_wait_dscnt 0x1
	v_mul_f64_e32 v[13:14], v[6:7], v[17:18]
	s_delay_alu instid0(VALU_DEP_1) | instskip(SKIP_1) | instid1(VALU_DEP_1)
	v_fma_f64 v[90:91], v[4:5], v[15:16], -v[13:14]
	v_mul_f64_e32 v[4:5], v[4:5], v[17:18]
	v_fma_f64 v[92:93], v[6:7], v[15:16], v[4:5]
	v_mul_f64_e32 v[4:5], v[11:12], v[21:22]
	s_delay_alu instid0(VALU_DEP_1) | instskip(SKIP_1) | instid1(VALU_DEP_1)
	v_fma_f64 v[94:95], v[9:10], v[19:20], -v[4:5]
	v_mul_f64_e32 v[4:5], v[9:10], v[21:22]
	v_fma_f64 v[100:101], v[11:12], v[19:20], v[4:5]
	ds_load_b128 v[4:7], v255 offset:8160
	ds_load_b128 v[138:141], v255 offset:8976
	s_clause 0x1
	scratch_store_b128 off, v[43:46], off offset:712
	scratch_store_b128 off, v[35:38], off offset:680
	s_wait_dscnt 0x1
	v_mul_f64_e32 v[8:9], v[6:7], v[45:46]
	s_delay_alu instid0(VALU_DEP_1) | instskip(SKIP_1) | instid1(VALU_DEP_1)
	v_fma_f64 v[102:103], v[4:5], v[43:44], -v[8:9]
	v_mul_f64_e32 v[4:5], v[4:5], v[45:46]
	v_fma_f64 v[104:105], v[6:7], v[43:44], v[4:5]
	v_mul_f64_e32 v[4:5], v[55:56], v[37:38]
	s_delay_alu instid0(VALU_DEP_1) | instskip(SKIP_1) | instid1(VALU_DEP_1)
	v_fma_f64 v[70:71], v[53:54], v[35:36], -v[4:5]
	v_mul_f64_e32 v[4:5], v[53:54], v[37:38]
	v_fma_f64 v[68:69], v[55:56], v[35:36], v[4:5]
	ds_load_b128 v[4:7], v255 offset:13056
	ds_load_b128 v[176:179], v255 offset:13872
	s_clause 0x1
	scratch_store_b128 off, v[39:42], off offset:696
	scratch_store_b128 off, v[27:30], off offset:648
	s_wait_dscnt 0x1
	v_mul_f64_e32 v[8:9], v[6:7], v[41:42]
	s_delay_alu instid0(VALU_DEP_1) | instskip(SKIP_1) | instid1(VALU_DEP_2)
	v_fma_f64 v[72:73], v[4:5], v[39:40], -v[8:9]
	v_mul_f64_e32 v[4:5], v[4:5], v[41:42]
	v_add_f64_e32 v[201:202], v[70:71], v[72:73]
	s_delay_alu instid0(VALU_DEP_2) | instskip(SKIP_2) | instid1(VALU_DEP_3)
	v_fma_f64 v[74:75], v[6:7], v[39:40], v[4:5]
	v_mul_f64_e32 v[4:5], v[63:64], v[29:30]
	v_add_f64_e64 v[207:208], v[70:71], -v[72:73]
	v_add_f64_e32 v[203:204], v[68:69], v[74:75]
	s_delay_alu instid0(VALU_DEP_3) | instskip(SKIP_4) | instid1(VALU_DEP_3)
	v_fma_f64 v[106:107], v[61:62], v[27:28], -v[4:5]
	v_mul_f64_e32 v[4:5], v[61:62], v[29:30]
	v_add_f64_e64 v[205:206], v[68:69], -v[74:75]
	s_wait_alu 0xfffe
	v_mul_f64_e32 v[211:212], s[26:27], v[207:208]
	v_fma_f64 v[112:113], v[63:64], v[27:28], v[4:5]
	ds_load_b128 v[4:7], v255 offset:17952
	ds_load_b128 v[62:65], v255 offset:18768
	s_clause 0x1
	scratch_store_b128 off, v[31:34], off offset:664
	scratch_store_b128 off, v[23:26], off offset:632
	v_mul_f64_e32 v[209:210], s[26:27], v[205:206]
	s_wait_dscnt 0x1
	v_mul_f64_e32 v[8:9], v[6:7], v[33:34]
	s_delay_alu instid0(VALU_DEP_1) | instskip(SKIP_1) | instid1(VALU_DEP_1)
	v_fma_f64 v[114:115], v[4:5], v[31:32], -v[8:9]
	v_mul_f64_e32 v[4:5], v[4:5], v[33:34]
	v_fma_f64 v[116:117], v[6:7], v[31:32], v[4:5]
	v_mul_f64_e32 v[4:5], v[82:83], v[25:26]
	s_delay_alu instid0(VALU_DEP_1) | instskip(SKIP_2) | instid1(VALU_DEP_2)
	v_fma_f64 v[118:119], v[80:81], v[23:24], -v[4:5]
	v_mul_f64_e32 v[4:5], v[80:81], v[25:26]
	v_add_f64_e64 v[80:81], v[88:89], -v[188:189]
	v_fma_f64 v[120:121], v[82:83], v[23:24], v[4:5]
	v_mul_lo_u16 v4, 0xa1, v48
	v_add_f64_e64 v[82:83], v[142:143], -v[191:192]
	s_delay_alu instid0(VALU_DEP_2) | instskip(NEXT) | instid1(VALU_DEP_1)
	v_lshrrev_b16 v4, 13, v4
	v_mul_lo_u16 v4, v4, 51
	s_delay_alu instid0(VALU_DEP_1) | instskip(NEXT) | instid1(VALU_DEP_1)
	v_sub_nc_u16 v4, v144, v4
	v_and_b32_e32 v151, 0xff, v4
	s_delay_alu instid0(VALU_DEP_1)
	v_lshlrev_b32_e32 v16, 7, v151
	s_clause 0x1
	global_load_b128 v[10:13], v16, s[0:1] offset:544
	global_load_b128 v[17:20], v16, s[0:1] offset:560
	v_lshlrev_b32_e32 v252, 4, v151
	s_wait_loadcnt 0x1
	v_mul_f64_e32 v[4:5], v[86:87], v[12:13]
	scratch_store_b128 off, v[10:13], off offset:760 ; 16-byte Folded Spill
	s_wait_loadcnt 0x0
	scratch_store_b128 off, v[17:20], off offset:728 ; 16-byte Folded Spill
	v_fma_f64 v[8:9], v[84:85], v[10:11], -v[4:5]
	v_mul_f64_e32 v[4:5], v[84:85], v[12:13]
	v_add_f64_e32 v[84:85], v[124:125], v[134:135]
	s_delay_alu instid0(VALU_DEP_2) | instskip(SKIP_2) | instid1(VALU_DEP_2)
	v_fma_f64 v[10:11], v[86:87], v[10:11], v[4:5]
	v_mul_f64_e32 v[4:5], v[51:52], v[19:20]
	v_add_f64_e64 v[86:87], v[180:181], -v[184:185]
	v_fma_f64 v[12:13], v[49:50], v[17:18], -v[4:5]
	v_mul_f64_e32 v[4:5], v[49:50], v[19:20]
	s_delay_alu instid0(VALU_DEP_1)
	v_fma_f64 v[14:15], v[51:52], v[17:18], v[4:5]
	s_clause 0x1
	global_load_b128 v[21:24], v16, s[0:1] offset:576
	global_load_b128 v[17:20], v16, s[0:1] offset:592
	s_wait_loadcnt 0x1
	v_mul_f64_e32 v[4:5], v[140:141], v[23:24]
	scratch_store_b128 off, v[21:24], off offset:792 ; 16-byte Folded Spill
	s_wait_loadcnt 0x0
	scratch_store_b128 off, v[17:20], off offset:744 ; 16-byte Folded Spill
	v_fma_f64 v[50:51], v[138:139], v[21:22], -v[4:5]
	v_mul_f64_e32 v[4:5], v[138:139], v[23:24]
	v_add_f64_e32 v[138:139], v[182:183], v[186:187]
	s_delay_alu instid0(VALU_DEP_2) | instskip(SKIP_4) | instid1(VALU_DEP_4)
	v_fma_f64 v[52:53], v[140:141], v[21:22], v[4:5]
	v_mul_f64_e32 v[4:5], v[59:60], v[19:20]
	v_add_f64_e32 v[140:141], v[180:181], v[184:185]
	v_add_f64_e64 v[180:181], v[132:133], -v[136:137]
	v_add_f64_e32 v[184:185], v[126:127], v[128:129]
	v_fma_f64 v[6:7], v[57:58], v[17:18], -v[4:5]
	v_mul_f64_e32 v[4:5], v[57:58], v[19:20]
	s_delay_alu instid0(VALU_DEP_1)
	v_fma_f64 v[4:5], v[59:60], v[17:18], v[4:5]
	s_clause 0x1
	global_load_b128 v[21:24], v16, s[0:1] offset:608
	global_load_b128 v[17:20], v16, s[0:1] offset:624
	s_wait_loadcnt 0x1
	v_mul_f64_e32 v[48:49], v[178:179], v[23:24]
	s_wait_loadcnt 0x0
	v_mul_f64_e32 v[56:57], v[78:79], v[19:20]
	v_mul_f64_e32 v[58:59], v[76:77], v[19:20]
	s_clause 0x1
	scratch_store_b128 off, v[21:24], off offset:824
	scratch_store_b128 off, v[17:20], off offset:776
	v_fma_f64 v[54:55], v[176:177], v[21:22], -v[48:49]
	v_mul_f64_e32 v[48:49], v[176:177], v[23:24]
	v_fma_f64 v[56:57], v[76:77], v[17:18], -v[56:57]
	v_fma_f64 v[58:59], v[78:79], v[17:18], v[58:59]
	s_delay_alu instid0(VALU_DEP_3)
	v_fma_f64 v[48:49], v[178:179], v[21:22], v[48:49]
	s_clause 0x1
	global_load_b128 v[20:23], v16, s[0:1] offset:640
	global_load_b128 v[16:19], v16, s[0:1] offset:656
	ds_load_b128 v[76:79], v255 offset:21216
	v_add_f64_e32 v[178:179], v[132:133], v[136:137]
	s_wait_loadcnt_dscnt 0x101
	v_mul_f64_e32 v[60:61], v[64:65], v[22:23]
	s_wait_loadcnt_dscnt 0x0
	v_mul_f64_e32 v[66:67], v[76:77], v[18:19]
	s_clause 0x1
	scratch_store_b128 off, v[20:23], off offset:840
	scratch_store_b128 off, v[16:19], off offset:808
	v_fma_f64 v[60:61], v[62:63], v[20:21], -v[60:61]
	v_mul_f64_e32 v[62:63], v[62:63], v[22:23]
	v_fma_f64 v[66:67], v[78:79], v[16:17], v[66:67]
	s_delay_alu instid0(VALU_DEP_2) | instskip(SKIP_4) | instid1(VALU_DEP_4)
	v_fma_f64 v[62:63], v[64:65], v[20:21], v[62:63]
	v_mul_f64_e32 v[64:65], v[78:79], v[18:19]
	v_add_f64_e32 v[78:79], v[142:143], v[191:192]
	v_add_f64_e64 v[191:192], v[124:125], -v[134:135]
	v_mul_f64_e32 v[134:135], s[30:31], v[80:81]
	v_fma_f64 v[64:65], v[76:77], v[16:17], -v[64:65]
	s_delay_alu instid0(VALU_DEP_4)
	v_add_f64_e32 v[142:143], v[138:139], v[78:79]
	v_add_f64_e32 v[76:77], v[88:89], v[188:189]
	v_add_f64_e64 v[88:89], v[182:183], -v[186:187]
	v_add_f64_e64 v[186:187], v[126:127], -v[128:129]
	;; [unrolled: 1-line block ×3, first 2 shown]
	v_fma_f64 v[134:135], v[86:87], s[16:17], v[134:135]
	v_add_f64_e32 v[176:177], v[84:85], v[142:143]
	v_add_f64_e32 v[182:183], v[140:141], v[76:77]
	s_delay_alu instid0(VALU_DEP_3) | instskip(NEXT) | instid1(VALU_DEP_3)
	v_fma_f64 v[134:135], v[188:189], s[18:19], v[134:135]
	v_add_f64_e32 v[176:177], v[132:133], v[176:177]
	s_delay_alu instid0(VALU_DEP_2) | instskip(NEXT) | instid1(VALU_DEP_2)
	v_fma_f64 v[197:198], v[186:187], s[22:23], v[134:135]
	v_add_f64_e32 v[132:133], v[136:137], v[176:177]
	v_add_f64_e32 v[176:177], v[122:123], v[130:131]
	s_delay_alu instid0(VALU_DEP_1) | instskip(NEXT) | instid1(VALU_DEP_1)
	v_add_f64_e32 v[136:137], v[176:177], v[182:183]
	v_add_f64_e32 v[136:137], v[126:127], v[136:137]
	s_delay_alu instid0(VALU_DEP_1)
	v_add_f64_e32 v[136:137], v[128:129], v[136:137]
	ds_load_b128 v[122:125], v255
	ds_load_b128 v[126:129], v255 offset:816
	global_wb scope:SCOPE_SE
	s_wait_storecnt_dscnt 0x0
	s_barrier_signal -1
	s_barrier_wait -1
	global_inv scope:SCOPE_SE
	v_fma_f64 v[193:194], v[76:77], s[24:25], v[122:123]
	v_fma_f64 v[195:196], v[78:79], s[24:25], v[124:125]
	v_add_f64_e32 v[132:133], v[124:125], v[132:133]
	v_add_f64_e32 v[130:131], v[122:123], v[136:137]
	v_mul_f64_e32 v[136:137], s[30:31], v[82:83]
	v_fma_f64 v[193:194], v[140:141], s[14:15], v[193:194]
	v_fma_f64 v[195:196], v[138:139], s[14:15], v[195:196]
	s_delay_alu instid0(VALU_DEP_3) | instskip(NEXT) | instid1(VALU_DEP_3)
	v_fma_f64 v[136:137], v[88:89], s[16:17], v[136:137]
	v_fma_f64 v[193:194], v[176:177], -0.5, v[193:194]
	s_delay_alu instid0(VALU_DEP_3) | instskip(NEXT) | instid1(VALU_DEP_3)
	v_fma_f64 v[195:196], v[84:85], -0.5, v[195:196]
	v_fma_f64 v[136:137], v[191:192], s[18:19], v[136:137]
	s_delay_alu instid0(VALU_DEP_3) | instskip(SKIP_1) | instid1(VALU_DEP_3)
	v_fma_f64 v[134:135], v[184:185], s[20:21], v[193:194]
	v_fma_f64 v[193:194], v[184:185], s[24:25], v[122:123]
	;; [unrolled: 1-line block ×5, first 2 shown]
	s_delay_alu instid0(VALU_DEP_3) | instskip(NEXT) | instid1(VALU_DEP_3)
	v_add_f64_e32 v[134:135], v[199:200], v[134:135]
	v_add_f64_e64 v[136:137], v[136:137], -v[197:198]
	ds_store_b128 v255, v[130:133]
	v_fma_f64 v[130:131], v[199:200], -2.0, v[134:135]
	ds_store_b128 v255, v[134:137] offset:816
	v_fma_f64 v[132:133], v[197:198], 2.0, v[136:137]
	v_add_f64_e32 v[134:135], v[122:123], v[176:177]
	v_fma_f64 v[197:198], v[140:141], s[24:25], v[122:123]
	v_add_f64_e32 v[122:123], v[184:185], v[182:183]
	v_add_f64_e32 v[136:137], v[124:125], v[84:85]
	v_fma_f64 v[199:200], v[138:139], s[24:25], v[124:125]
	v_add_f64_e32 v[124:125], v[178:179], v[142:143]
	s_delay_alu instid0(VALU_DEP_4) | instskip(SKIP_1) | instid1(VALU_DEP_3)
	v_fma_f64 v[122:123], v[122:123], -0.5, v[134:135]
	v_add_f64_e32 v[134:135], v[180:181], v[82:83]
	v_fma_f64 v[124:125], v[124:125], -0.5, v[136:137]
	v_fma_f64 v[136:137], v[78:79], s[14:15], v[195:196]
	s_delay_alu instid0(VALU_DEP_3) | instskip(SKIP_1) | instid1(VALU_DEP_3)
	v_add_f64_e64 v[142:143], v[134:135], -v[88:89]
	v_add_f64_e32 v[134:135], v[186:187], v[80:81]
	v_fma_f64 v[136:137], v[84:85], -0.5, v[136:137]
	s_delay_alu instid0(VALU_DEP_3) | instskip(NEXT) | instid1(VALU_DEP_3)
	v_fma_f64 v[122:123], v[142:143], s[18:19], v[122:123]
	v_add_f64_e64 v[182:183], v[134:135], -v[86:87]
	v_fma_f64 v[134:135], v[76:77], s[14:15], v[193:194]
	s_delay_alu instid0(VALU_DEP_4) | instskip(SKIP_1) | instid1(VALU_DEP_4)
	v_fma_f64 v[136:137], v[138:139], s[20:21], v[136:137]
	v_mul_f64_e32 v[138:139], s[26:27], v[180:181]
	v_fma_f64 v[124:125], v[182:183], s[28:29], v[124:125]
	s_delay_alu instid0(VALU_DEP_4) | instskip(NEXT) | instid1(VALU_DEP_3)
	v_fma_f64 v[134:135], v[176:177], -0.5, v[134:135]
	v_fma_f64 v[138:139], v[82:83], s[16:17], v[138:139]
	s_delay_alu instid0(VALU_DEP_2) | instskip(SKIP_1) | instid1(VALU_DEP_3)
	v_fma_f64 v[134:135], v[140:141], s[20:21], v[134:135]
	v_mul_f64_e32 v[140:141], s[26:27], v[186:187]
	v_fma_f64 v[138:139], v[191:192], s[28:29], v[138:139]
	s_delay_alu instid0(VALU_DEP_2) | instskip(NEXT) | instid1(VALU_DEP_2)
	v_fma_f64 v[140:141], v[80:81], s[16:17], v[140:141]
	v_fma_f64 v[193:194], v[88:89], s[22:23], v[138:139]
	v_mul_f64_e32 v[138:139], s[18:19], v[142:143]
	v_add_f64_e32 v[142:143], v[94:95], v[114:115]
	v_add_f64_e64 v[94:95], v[94:95], -v[114:115]
	v_add_f64_e32 v[114:115], v[100:101], v[116:117]
	v_add_f64_e64 v[116:117], v[100:101], -v[116:117]
	v_fma_f64 v[140:141], v[188:189], s[28:29], v[140:141]
	v_add_f64_e32 v[134:135], v[193:194], v[134:135]
	v_fma_f64 v[138:139], v[138:139], -2.0, v[122:123]
	s_delay_alu instid0(VALU_DEP_3) | instskip(SKIP_2) | instid1(VALU_DEP_3)
	v_fma_f64 v[195:196], v[86:87], s[22:23], v[140:141]
	v_mul_f64_e32 v[140:141], s[18:19], v[182:183]
	v_add_f64_e32 v[182:183], v[102:103], v[106:107]
	v_add_f64_e64 v[136:137], v[136:137], -v[195:196]
	s_delay_alu instid0(VALU_DEP_3)
	v_fma_f64 v[140:141], v[140:141], 2.0, v[124:125]
	ds_store_b128 v255, v[122:125] offset:2448
	v_fma_f64 v[122:123], v[193:194], -2.0, v[134:135]
	v_add_f64_e64 v[193:194], v[102:103], -v[106:107]
	ds_store_b128 v255, v[134:137] offset:1632
	v_fma_f64 v[124:125], v[195:196], 2.0, v[136:137]
	v_add_f64_e32 v[134:135], v[90:91], v[118:119]
	v_add_f64_e64 v[118:119], v[90:91], -v[118:119]
	v_add_f64_e64 v[136:137], v[92:93], -v[120:121]
	v_add_f64_e32 v[120:121], v[92:93], v[120:121]
	v_add_f64_e32 v[195:196], v[104:105], v[112:113]
	v_add_f64_e64 v[112:113], v[104:105], -v[112:113]
	v_fma_f64 v[92:93], v[134:135], s[24:25], v[126:127]
	v_mul_f64_e32 v[102:103], s[30:31], v[118:119]
	v_mul_f64_e32 v[90:91], s[30:31], v[136:137]
	v_fma_f64 v[100:101], v[120:121], s[24:25], v[128:129]
	v_fma_f64 v[209:210], v[136:137], s[16:17], v[209:210]
	;; [unrolled: 1-line block ×9, first 2 shown]
	v_fma_f64 v[92:93], v[182:183], -0.5, v[92:93]
	v_fma_f64 v[102:103], v[193:194], s[18:19], v[102:103]
	v_fma_f64 v[90:91], v[112:113], s[18:19], v[90:91]
	v_fma_f64 v[100:101], v[195:196], -0.5, v[100:101]
	v_fma_f64 v[209:210], v[116:117], s[22:23], v[209:210]
	v_fma_f64 v[211:212], v[94:95], s[22:23], v[211:212]
	;; [unrolled: 1-line block ×7, first 2 shown]
	s_delay_alu instid0(VALU_DEP_3) | instskip(NEXT) | instid1(VALU_DEP_3)
	v_add_f64_e32 v[90:91], v[104:105], v[92:93]
	v_add_f64_e64 v[92:93], v[100:101], -v[106:107]
	v_fma_f64 v[100:101], v[201:202], s[24:25], v[126:127]
	s_delay_alu instid0(VALU_DEP_4) | instskip(NEXT) | instid1(VALU_DEP_4)
	v_fma_f64 v[102:103], v[120:121], s[14:15], v[102:103]
	v_fma_f64 v[104:105], v[104:105], -2.0, v[90:91]
	s_delay_alu instid0(VALU_DEP_4) | instskip(NEXT) | instid1(VALU_DEP_4)
	v_fma_f64 v[106:107], v[106:107], 2.0, v[92:93]
	v_fma_f64 v[100:101], v[134:135], s[14:15], v[100:101]
	s_delay_alu instid0(VALU_DEP_4) | instskip(NEXT) | instid1(VALU_DEP_2)
	v_fma_f64 v[102:103], v[195:196], -0.5, v[102:103]
	v_fma_f64 v[100:101], v[182:183], -0.5, v[100:101]
	s_delay_alu instid0(VALU_DEP_2) | instskip(NEXT) | instid1(VALU_DEP_2)
	v_fma_f64 v[102:103], v[114:115], s[20:21], v[102:103]
	v_fma_f64 v[100:101], v[142:143], s[20:21], v[100:101]
	s_delay_alu instid0(VALU_DEP_2) | instskip(NEXT) | instid1(VALU_DEP_2)
	v_add_f64_e64 v[102:103], v[102:103], -v[211:212]
	v_add_f64_e32 v[100:101], v[209:210], v[100:101]
	ds_store_b128 v255, v[90:93] offset:8160
	v_fma_f64 v[92:93], v[211:212], 2.0, v[102:103]
	ds_store_b128 v255, v[100:103] offset:8976
	v_fma_f64 v[90:91], v[209:210], -2.0, v[100:101]
	v_add_f64_e32 v[100:101], v[142:143], v[134:135]
	s_delay_alu instid0(VALU_DEP_1) | instskip(SKIP_1) | instid1(VALU_DEP_2)
	v_add_f64_e32 v[102:103], v[182:183], v[100:101]
	v_add_f64_e32 v[100:101], v[201:202], v[100:101]
	;; [unrolled: 1-line block ×4, first 2 shown]
	s_delay_alu instid0(VALU_DEP_2) | instskip(NEXT) | instid1(VALU_DEP_2)
	v_add_f64_e32 v[70:71], v[72:73], v[70:71]
	v_add_f64_e32 v[209:210], v[195:196], v[102:103]
	;; [unrolled: 1-line block ×3, first 2 shown]
	s_delay_alu instid0(VALU_DEP_2) | instskip(NEXT) | instid1(VALU_DEP_1)
	v_add_f64_e32 v[68:69], v[68:69], v[209:210]
	v_add_f64_e32 v[72:73], v[74:75], v[68:69]
	v_add_f64_e32 v[68:69], v[126:127], v[70:71]
	v_fma_f64 v[74:75], v[114:115], s[24:25], v[128:129]
	v_add_f64_e32 v[114:115], v[126:127], v[182:183]
	s_delay_alu instid0(VALU_DEP_4)
	v_add_f64_e32 v[70:71], v[128:129], v[72:73]
	v_fma_f64 v[72:73], v[142:143], s[24:25], v[126:127]
	v_add_f64_e32 v[126:127], v[128:129], v[195:196]
	v_mul_f64_e32 v[128:129], s[16:17], v[207:208]
	v_add_f64_e32 v[142:143], v[207:208], v[118:119]
	v_fma_f64 v[74:75], v[203:204], s[14:15], v[74:75]
	v_fma_f64 v[100:101], v[100:101], -0.5, v[114:115]
	v_fma_f64 v[72:73], v[201:202], s[14:15], v[72:73]
	v_fma_f64 v[102:103], v[102:103], -0.5, v[126:127]
	v_fma_f64 v[128:129], v[94:95], s[26:27], -v[128:129]
	v_add_f64_e64 v[94:95], v[142:143], -v[94:95]
	v_mul_f64_e32 v[142:143], s[16:17], v[205:206]
	v_fma_f64 v[74:75], v[195:196], -0.5, v[74:75]
	v_fma_f64 v[72:73], v[182:183], -0.5, v[72:73]
	v_fma_f64 v[128:129], v[193:194], s[18:19], v[128:129]
	s_delay_alu instid0(VALU_DEP_4) | instskip(NEXT) | instid1(VALU_DEP_4)
	v_fma_f64 v[142:143], v[116:117], s[26:27], -v[142:143]
	v_fma_f64 v[114:115], v[120:121], s[20:21], v[74:75]
	v_fma_f64 v[74:75], v[94:95], s[28:29], v[102:103]
	v_mul_f64_e32 v[94:95], s[18:19], v[94:95]
	v_fma_f64 v[118:119], v[118:119], s[22:23], v[128:129]
	v_fma_f64 v[112:113], v[112:113], s[18:19], v[142:143]
	v_add_f64_e32 v[142:143], v[205:206], v[136:137]
	s_delay_alu instid0(VALU_DEP_3) | instskip(SKIP_1) | instid1(VALU_DEP_4)
	v_add_f64_e64 v[102:103], v[114:115], -v[118:119]
	v_fma_f64 v[114:115], v[94:95], 2.0, v[74:75]
	v_fma_f64 v[126:127], v[136:137], s[22:23], v[112:113]
	s_delay_alu instid0(VALU_DEP_4) | instskip(SKIP_2) | instid1(VALU_DEP_3)
	v_add_f64_e64 v[116:117], v[142:143], -v[116:117]
	v_fma_f64 v[112:113], v[134:135], s[20:21], v[72:73]
	v_mul_f64_e32 v[94:95], s[16:17], v[186:187]
	v_fma_f64 v[72:73], v[116:117], s[18:19], v[100:101]
	s_delay_alu instid0(VALU_DEP_3) | instskip(SKIP_1) | instid1(VALU_DEP_4)
	v_add_f64_e32 v[100:101], v[126:127], v[112:113]
	v_mul_f64_e32 v[112:113], s[18:19], v[116:117]
	v_fma_f64 v[86:87], v[86:87], s[26:27], -v[94:95]
	v_mul_f64_e32 v[94:95], s[16:17], v[180:181]
	ds_store_b128 v255, v[72:75] offset:9792
	ds_store_b128 v255, v[100:103] offset:10608
	v_fma_f64 v[112:113], v[112:113], -2.0, v[72:73]
	v_fma_f64 v[72:73], v[126:127], -2.0, v[100:101]
	v_fma_f64 v[88:89], v[88:89], s[26:27], -v[94:95]
	v_fma_f64 v[94:95], v[184:185], s[14:15], v[197:198]
	v_fma_f64 v[100:101], v[178:179], s[14:15], v[199:200]
	;; [unrolled: 1-line block ×3, first 2 shown]
	v_fma_f64 v[74:75], v[118:119], 2.0, v[102:103]
	v_fma_f64 v[88:89], v[191:192], s[18:19], v[88:89]
	v_fma_f64 v[94:95], v[176:177], -0.5, v[94:95]
	v_fma_f64 v[84:85], v[84:85], -0.5, v[100:101]
	v_fma_f64 v[86:87], v[80:81], s[22:23], v[86:87]
	s_delay_alu instid0(VALU_DEP_4) | instskip(NEXT) | instid1(VALU_DEP_4)
	v_fma_f64 v[80:81], v[82:83], s[22:23], v[88:89]
	v_fma_f64 v[76:77], v[76:77], s[20:21], v[94:95]
	s_delay_alu instid0(VALU_DEP_4) | instskip(NEXT) | instid1(VALU_DEP_2)
	v_fma_f64 v[78:79], v[78:79], s[20:21], v[84:85]
	v_add_f64_e32 v[76:77], v[80:81], v[76:77]
	s_delay_alu instid0(VALU_DEP_2) | instskip(NEXT) | instid1(VALU_DEP_2)
	v_add_f64_e64 v[78:79], v[78:79], -v[86:87]
	v_fma_f64 v[80:81], v[80:81], -2.0, v[76:77]
	s_delay_alu instid0(VALU_DEP_2)
	v_fma_f64 v[82:83], v[86:87], 2.0, v[78:79]
	ds_store_b128 v255, v[76:79] offset:3264
	ds_store_b128 v255, v[80:83] offset:4080
	;; [unrolled: 1-line block ×10, first 2 shown]
	v_add_f64_e32 v[68:69], v[8:9], v[64:65]
	v_add_f64_e32 v[72:73], v[12:13], v[60:61]
	v_add_f64_e64 v[60:61], v[12:13], -v[60:61]
	v_add_f64_e32 v[12:13], v[14:15], v[62:63]
	v_add_f64_e64 v[62:63], v[14:15], -v[62:63]
	v_add_f64_e32 v[74:75], v[50:51], v[56:57]
	v_add_f64_e64 v[64:65], v[8:9], -v[64:65]
	v_add_f64_e32 v[70:71], v[10:11], v[66:67]
	v_add_f64_e64 v[50:51], v[50:51], -v[56:57]
	v_add_f64_e32 v[56:57], v[52:53], v[58:59]
	v_add_f64_e64 v[52:53], v[52:53], -v[58:59]
	v_add_f64_e64 v[58:59], v[6:7], -v[54:55]
	v_add_f64_e32 v[76:77], v[6:7], v[54:55]
	v_add_f64_e64 v[66:67], v[10:11], -v[66:67]
	v_add_f64_e32 v[78:79], v[4:5], v[48:49]
	v_fma_f64 v[80:81], v[68:69], s[24:25], v[0:1]
	v_add_f64_e32 v[14:15], v[72:73], v[68:69]
	v_fma_f64 v[82:83], v[70:71], s[24:25], v[2:3]
	v_mul_f64_e32 v[10:11], s[30:31], v[66:67]
	s_delay_alu instid0(VALU_DEP_4) | instskip(NEXT) | instid1(VALU_DEP_4)
	v_fma_f64 v[80:81], v[72:73], s[14:15], v[80:81]
	v_add_f64_e32 v[8:9], v[74:75], v[14:15]
	v_add_f64_e32 v[14:15], v[76:77], v[14:15]
	v_fma_f64 v[82:83], v[12:13], s[14:15], v[82:83]
	v_fma_f64 v[10:11], v[62:63], s[16:17], v[10:11]
	v_fma_f64 v[80:81], v[74:75], -0.5, v[80:81]
	v_add_f64_e32 v[8:9], v[6:7], v[8:9]
	s_delay_alu instid0(VALU_DEP_4) | instskip(NEXT) | instid1(VALU_DEP_4)
	v_fma_f64 v[82:83], v[56:57], -0.5, v[82:83]
	v_fma_f64 v[10:11], v[52:53], s[18:19], v[10:11]
	s_delay_alu instid0(VALU_DEP_3) | instskip(SKIP_1) | instid1(VALU_DEP_1)
	v_add_f64_e32 v[6:7], v[54:55], v[8:9]
	v_add_f64_e32 v[54:55], v[12:13], v[70:71]
	;; [unrolled: 1-line block ×3, first 2 shown]
	s_delay_alu instid0(VALU_DEP_1) | instskip(NEXT) | instid1(VALU_DEP_1)
	v_add_f64_e32 v[8:9], v[4:5], v[8:9]
	v_add_f64_e32 v[8:9], v[48:49], v[8:9]
	v_add_f64_e64 v[48:49], v[4:5], -v[48:49]
	v_add_f64_e32 v[4:5], v[0:1], v[6:7]
	s_delay_alu instid0(VALU_DEP_3) | instskip(SKIP_1) | instid1(VALU_DEP_4)
	v_add_f64_e32 v[6:7], v[2:3], v[8:9]
	v_mul_f64_e32 v[8:9], s[30:31], v[64:65]
	v_fma_f64 v[86:87], v[48:49], s[22:23], v[10:11]
	v_fma_f64 v[10:11], v[78:79], s[20:21], v[82:83]
	;; [unrolled: 1-line block ×3, first 2 shown]
	s_delay_alu instid0(VALU_DEP_4) | instskip(NEXT) | instid1(VALU_DEP_1)
	v_fma_f64 v[8:9], v[60:61], s[16:17], v[8:9]
	v_fma_f64 v[8:9], v[50:51], s[18:19], v[8:9]
	s_delay_alu instid0(VALU_DEP_1) | instskip(SKIP_2) | instid1(VALU_DEP_3)
	v_fma_f64 v[84:85], v[58:59], s[22:23], v[8:9]
	v_fma_f64 v[8:9], v[76:77], s[20:21], v[80:81]
	;; [unrolled: 1-line block ×3, first 2 shown]
	v_add_f64_e64 v[10:11], v[10:11], -v[84:85]
	s_delay_alu instid0(VALU_DEP_3)
	v_add_f64_e32 v[8:9], v[86:87], v[8:9]
	ds_store_b128 v252, v[4:7] offset:14688
	v_fma_f64 v[6:7], v[84:85], 2.0, v[10:11]
	ds_store_b128 v252, v[8:11] offset:15504
	v_fma_f64 v[4:5], v[86:87], -2.0, v[8:9]
	v_fma_f64 v[8:9], v[76:77], s[24:25], v[0:1]
	v_add_f64_e32 v[0:1], v[0:1], v[74:75]
	v_fma_f64 v[10:11], v[78:79], s[24:25], v[2:3]
	v_add_f64_e32 v[2:3], v[2:3], v[56:57]
	s_delay_alu instid0(VALU_DEP_3) | instskip(SKIP_1) | instid1(VALU_DEP_1)
	v_fma_f64 v[14:15], v[14:15], -0.5, v[0:1]
	v_add_f64_e32 v[0:1], v[78:79], v[54:55]
	v_fma_f64 v[54:55], v[0:1], -0.5, v[2:3]
	v_fma_f64 v[0:1], v[68:69], s[14:15], v[8:9]
	v_mul_f64_e32 v[8:9], s[26:27], v[48:49]
	v_fma_f64 v[2:3], v[70:71], s[14:15], v[10:11]
	v_mul_f64_e32 v[10:11], s[26:27], v[58:59]
	s_delay_alu instid0(VALU_DEP_4) | instskip(NEXT) | instid1(VALU_DEP_4)
	v_fma_f64 v[0:1], v[74:75], -0.5, v[0:1]
	v_fma_f64 v[8:9], v[66:67], s[16:17], v[8:9]
	s_delay_alu instid0(VALU_DEP_4) | instskip(NEXT) | instid1(VALU_DEP_4)
	v_fma_f64 v[2:3], v[56:57], -0.5, v[2:3]
	v_fma_f64 v[10:11], v[64:65], s[16:17], v[10:11]
	s_delay_alu instid0(VALU_DEP_4) | instskip(NEXT) | instid1(VALU_DEP_4)
	v_fma_f64 v[0:1], v[72:73], s[20:21], v[0:1]
	v_fma_f64 v[8:9], v[52:53], s[28:29], v[8:9]
	s_delay_alu instid0(VALU_DEP_4) | instskip(NEXT) | instid1(VALU_DEP_4)
	v_fma_f64 v[2:3], v[12:13], s[20:21], v[2:3]
	v_fma_f64 v[10:11], v[50:51], s[28:29], v[10:11]
	s_delay_alu instid0(VALU_DEP_3) | instskip(SKIP_1) | instid1(VALU_DEP_3)
	v_fma_f64 v[12:13], v[62:63], s[22:23], v[8:9]
	v_add_f64_e32 v[8:9], v[48:49], v[66:67]
	v_fma_f64 v[72:73], v[60:61], s[22:23], v[10:11]
	s_delay_alu instid0(VALU_DEP_3) | instskip(NEXT) | instid1(VALU_DEP_3)
	v_add_f64_e32 v[0:1], v[12:13], v[0:1]
	v_add_f64_e64 v[84:85], v[8:9], -v[62:63]
	v_add_f64_e32 v[8:9], v[58:59], v[64:65]
	s_delay_alu instid0(VALU_DEP_4) | instskip(NEXT) | instid1(VALU_DEP_4)
	v_add_f64_e64 v[2:3], v[2:3], -v[72:73]
	v_fma_f64 v[12:13], v[12:13], -2.0, v[0:1]
	s_delay_alu instid0(VALU_DEP_3) | instskip(SKIP_1) | instid1(VALU_DEP_4)
	v_add_f64_e64 v[86:87], v[8:9], -v[60:61]
	v_fma_f64 v[8:9], v[84:85], s[18:19], v[14:15]
	v_fma_f64 v[14:15], v[72:73], 2.0, v[2:3]
	s_delay_alu instid0(VALU_DEP_3)
	v_fma_f64 v[10:11], v[86:87], s[28:29], v[54:55]
	ds_store_b128 v252, v[0:3] offset:16320
	v_mul_f64_e32 v[0:1], s[18:19], v[84:85]
	v_mul_f64_e32 v[2:3], s[18:19], v[86:87]
	v_fma_f64 v[54:55], v[78:79], s[14:15], v[82:83]
	ds_store_b128 v252, v[8:11] offset:17136
	v_fma_f64 v[0:1], v[0:1], -2.0, v[8:9]
	v_fma_f64 v[2:3], v[2:3], 2.0, v[10:11]
	v_mul_f64_e32 v[8:9], s[16:17], v[58:59]
	v_mul_f64_e32 v[10:11], s[16:17], v[48:49]
	v_fma_f64 v[48:49], v[76:77], s[14:15], v[80:81]
	s_delay_alu instid0(VALU_DEP_3) | instskip(NEXT) | instid1(VALU_DEP_3)
	v_fma_f64 v[8:9], v[60:61], s[26:27], -v[8:9]
	v_fma_f64 v[10:11], v[62:63], s[26:27], -v[10:11]
	s_delay_alu instid0(VALU_DEP_3) | instskip(NEXT) | instid1(VALU_DEP_3)
	v_fma_f64 v[48:49], v[74:75], -0.5, v[48:49]
	v_fma_f64 v[8:9], v[50:51], s[18:19], v[8:9]
	s_delay_alu instid0(VALU_DEP_3) | instskip(SKIP_1) | instid1(VALU_DEP_3)
	v_fma_f64 v[10:11], v[52:53], s[18:19], v[10:11]
	v_fma_f64 v[50:51], v[56:57], -0.5, v[54:55]
	v_fma_f64 v[52:53], v[64:65], s[22:23], v[8:9]
	s_delay_alu instid0(VALU_DEP_3) | instskip(SKIP_1) | instid1(VALU_DEP_4)
	v_fma_f64 v[54:55], v[66:67], s[22:23], v[10:11]
	v_fma_f64 v[8:9], v[68:69], s[20:21], v[48:49]
	;; [unrolled: 1-line block ×3, first 2 shown]
	s_delay_alu instid0(VALU_DEP_2) | instskip(NEXT) | instid1(VALU_DEP_2)
	v_add_f64_e32 v[8:9], v[54:55], v[8:9]
	v_add_f64_e64 v[10:11], v[10:11], -v[52:53]
	s_delay_alu instid0(VALU_DEP_2) | instskip(NEXT) | instid1(VALU_DEP_2)
	v_fma_f64 v[48:49], v[54:55], -2.0, v[8:9]
	v_fma_f64 v[50:51], v[52:53], 2.0, v[10:11]
	ds_store_b128 v252, v[8:11] offset:17952
	ds_store_b128 v252, v[48:51] offset:18768
	;; [unrolled: 1-line block ×5, first 2 shown]
	v_lshlrev_b32_e32 v0, 5, v163
	global_wb scope:SCOPE_SE
	s_wait_dscnt 0x0
	s_barrier_signal -1
	s_barrier_wait -1
	global_inv scope:SCOPE_SE
	s_clause 0x1
	global_load_b128 v[6:9], v0, s[0:1] offset:7072
	global_load_b128 v[10:13], v0, s[0:1] offset:7088
	ds_load_b128 v[0:3], v255 offset:7344
	ds_load_b128 v[76:79], v255 offset:6528
	s_wait_loadcnt_dscnt 0x101
	v_mul_f64_e32 v[4:5], v[2:3], v[8:9]
	scratch_store_b128 off, v[6:9], off offset:596 ; 16-byte Folded Spill
	v_fma_f64 v[56:57], v[0:1], v[6:7], -v[4:5]
	v_mul_f64_e32 v[0:1], v[0:1], v[8:9]
	s_delay_alu instid0(VALU_DEP_1)
	v_fma_f64 v[58:59], v[2:3], v[6:7], v[0:1]
	ds_load_b128 v[0:3], v255 offset:14688
	ds_load_b128 v[4:7], v255 offset:15504
	s_wait_loadcnt 0x0
	scratch_store_b128 off, v[10:13], off offset:612 ; 16-byte Folded Spill
	s_wait_dscnt 0x1
	v_mul_f64_e32 v[8:9], v[2:3], v[12:13]
	s_delay_alu instid0(VALU_DEP_1) | instskip(SKIP_1) | instid1(VALU_DEP_2)
	v_fma_f64 v[60:61], v[0:1], v[10:11], -v[8:9]
	v_mul_f64_e32 v[0:1], v[0:1], v[12:13]
	v_add_f64_e32 v[88:89], v[56:57], v[60:61]
	s_delay_alu instid0(VALU_DEP_2)
	v_fma_f64 v[62:63], v[2:3], v[10:11], v[0:1]
	v_lshlrev_b32_e32 v0, 5, v190
	s_clause 0x1
	global_load_b128 v[18:21], v0, s[0:1] offset:7072
	global_load_b128 v[14:17], v0, s[0:1] offset:7088
	ds_load_b128 v[0:3], v255 offset:8160
	ds_load_b128 v[8:11], v255 offset:8976
	s_wait_loadcnt_dscnt 0x101
	v_mul_f64_e32 v[12:13], v[2:3], v[20:21]
	scratch_store_b128 off, v[18:21], off offset:896 ; 16-byte Folded Spill
	s_wait_loadcnt 0x0
	scratch_store_b128 off, v[14:17], off offset:880 ; 16-byte Folded Spill
	v_fma_f64 v[64:65], v[0:1], v[18:19], -v[12:13]
	v_mul_f64_e32 v[0:1], v[0:1], v[20:21]
	s_delay_alu instid0(VALU_DEP_1) | instskip(SKIP_1) | instid1(VALU_DEP_1)
	v_fma_f64 v[66:67], v[2:3], v[18:19], v[0:1]
	v_mul_f64_e32 v[0:1], v[6:7], v[16:17]
	v_fma_f64 v[68:69], v[4:5], v[14:15], -v[0:1]
	v_mul_f64_e32 v[0:1], v[4:5], v[16:17]
	s_delay_alu instid0(VALU_DEP_1)
	v_fma_f64 v[70:71], v[6:7], v[14:15], v[0:1]
	v_lshlrev_b32_e32 v0, 5, v144
	s_clause 0x1
	global_load_b128 v[2:5], v0, s[0:1] offset:7072
	global_load_b128 v[12:15], v0, s[0:1] offset:7088
	s_wait_loadcnt_dscnt 0x100
	v_mul_f64_e32 v[0:1], v[10:11], v[4:5]
	scratch_store_b128 off, v[2:5], off offset:944 ; 16-byte Folded Spill
	v_fma_f64 v[72:73], v[8:9], v[2:3], -v[0:1]
	v_mul_f64_e32 v[0:1], v[8:9], v[4:5]
	s_delay_alu instid0(VALU_DEP_1)
	v_fma_f64 v[74:75], v[10:11], v[2:3], v[0:1]
	ds_load_b128 v[0:3], v255 offset:16320
	ds_load_b128 v[4:7], v255 offset:17136
	s_wait_loadcnt 0x0
	scratch_store_b128 off, v[12:15], off offset:912 ; 16-byte Folded Spill
	s_wait_dscnt 0x1
	v_mul_f64_e32 v[8:9], v[2:3], v[14:15]
	s_delay_alu instid0(VALU_DEP_1) | instskip(SKIP_1) | instid1(VALU_DEP_1)
	v_fma_f64 v[80:81], v[0:1], v[12:13], -v[8:9]
	v_mul_f64_e32 v[0:1], v[0:1], v[14:15]
	v_fma_f64 v[82:83], v[2:3], v[12:13], v[0:1]
	v_lshlrev_b32_e32 v0, 5, v145
	s_clause 0x1
	global_load_b128 v[18:21], v0, s[0:1] offset:7072
	global_load_b128 v[14:17], v0, s[0:1] offset:7088
	ds_load_b128 v[0:3], v255 offset:9792
	ds_load_b128 v[8:11], v255 offset:10608
	s_wait_loadcnt_dscnt 0x101
	v_mul_f64_e32 v[12:13], v[2:3], v[20:21]
	scratch_store_b128 off, v[18:21], off offset:960 ; 16-byte Folded Spill
	s_wait_loadcnt 0x0
	scratch_store_b128 off, v[14:17], off offset:928 ; 16-byte Folded Spill
	v_fma_f64 v[84:85], v[0:1], v[18:19], -v[12:13]
	v_mul_f64_e32 v[0:1], v[0:1], v[20:21]
	s_delay_alu instid0(VALU_DEP_1) | instskip(SKIP_1) | instid1(VALU_DEP_1)
	v_fma_f64 v[86:87], v[2:3], v[18:19], v[0:1]
	v_mul_f64_e32 v[0:1], v[6:7], v[16:17]
	v_fma_f64 v[136:137], v[4:5], v[14:15], -v[0:1]
	v_mul_f64_e32 v[0:1], v[4:5], v[16:17]
	s_delay_alu instid0(VALU_DEP_1)
	v_fma_f64 v[132:133], v[6:7], v[14:15], v[0:1]
	v_lshlrev_b32_e32 v0, 5, v146
	s_clause 0x1
	global_load_b128 v[2:5], v0, s[0:1] offset:7072
	global_load_b128 v[12:15], v0, s[0:1] offset:7088
	s_wait_loadcnt_dscnt 0x100
	v_mul_f64_e32 v[0:1], v[10:11], v[4:5]
	scratch_store_b128 off, v[2:5], off offset:1008 ; 16-byte Folded Spill
	v_fma_f64 v[176:177], v[8:9], v[2:3], -v[0:1]
	v_mul_f64_e32 v[0:1], v[8:9], v[4:5]
	s_delay_alu instid0(VALU_DEP_1)
	v_fma_f64 v[144:145], v[10:11], v[2:3], v[0:1]
	ds_load_b128 v[0:3], v255 offset:17952
	ds_load_b128 v[4:7], v255 offset:18768
	s_wait_loadcnt 0x0
	scratch_store_b128 off, v[12:15], off offset:976 ; 16-byte Folded Spill
	s_wait_dscnt 0x1
	v_mul_f64_e32 v[8:9], v[2:3], v[14:15]
	s_delay_alu instid0(VALU_DEP_1) | instskip(SKIP_1) | instid1(VALU_DEP_1)
	v_fma_f64 v[178:179], v[0:1], v[12:13], -v[8:9]
	v_mul_f64_e32 v[0:1], v[0:1], v[14:15]
	;; [unrolled: 41-line block ×3, first 2 shown]
	v_fma_f64 v[196:197], v[6:7], v[0:1], v[4:5]
	v_lshlrev_b32_e32 v0, 5, v149
	s_clause 0x1
	global_load_b128 v[4:7], v0, s[0:1] offset:7072
	global_load_b128 v[0:3], v0, s[0:1] offset:7088
	ds_load_b128 v[12:15], v255 offset:13056
	ds_load_b128 v[48:51], v255 offset:13872
	s_wait_loadcnt_dscnt 0x101
	v_mul_f64_e32 v[52:53], v[14:15], v[6:7]
	scratch_store_b128 off, v[4:7], off offset:1088 ; 16-byte Folded Spill
	s_wait_loadcnt 0x0
	scratch_store_b128 off, v[0:3], off offset:1056 ; 16-byte Folded Spill
	v_fma_f64 v[198:199], v[12:13], v[4:5], -v[52:53]
	v_mul_f64_e32 v[12:13], v[12:13], v[6:7]
	s_delay_alu instid0(VALU_DEP_1) | instskip(SKIP_1) | instid1(VALU_DEP_1)
	v_fma_f64 v[204:205], v[14:15], v[4:5], v[12:13]
	v_mul_f64_e32 v[12:13], v[10:11], v[2:3]
	v_fma_f64 v[206:207], v[8:9], v[0:1], -v[12:13]
	v_mul_f64_e32 v[8:9], v[8:9], v[2:3]
	s_delay_alu instid0(VALU_DEP_1)
	v_fma_f64 v[208:209], v[10:11], v[0:1], v[8:9]
	v_lshlrev_b32_e32 v0, 5, v150
	s_clause 0x1
	global_load_b128 v[4:7], v0, s[0:1] offset:7072
	global_load_b128 v[0:3], v0, s[0:1] offset:7088
	s_add_nc_u64 s[0:1], s[12:13], 0x5610
	s_wait_loadcnt_dscnt 0x100
	v_mul_f64_e32 v[52:53], v[50:51], v[6:7]
	scratch_store_b128 off, v[4:7], off offset:1120 ; 16-byte Folded Spill
	s_wait_loadcnt 0x0
	scratch_store_b128 off, v[0:3], off offset:1104 ; 16-byte Folded Spill
	v_fma_f64 v[210:211], v[48:49], v[4:5], -v[52:53]
	v_mul_f64_e32 v[48:49], v[48:49], v[6:7]
	s_delay_alu instid0(VALU_DEP_1) | instskip(SKIP_3) | instid1(VALU_DEP_1)
	v_fma_f64 v[212:213], v[50:51], v[4:5], v[48:49]
	ds_load_b128 v[48:51], v255 offset:21216
	s_wait_dscnt 0x0
	v_mul_f64_e32 v[52:53], v[50:51], v[2:3]
	v_fma_f64 v[214:215], v[48:49], v[0:1], -v[52:53]
	v_mul_f64_e32 v[48:49], v[48:49], v[2:3]
	s_delay_alu instid0(VALU_DEP_1)
	v_fma_f64 v[218:219], v[50:51], v[0:1], v[48:49]
	ds_load_b128 v[48:51], v255
	ds_load_b128 v[52:55], v255 offset:816
	s_wait_dscnt 0x1
	v_fma_f64 v[94:95], v[88:89], -0.5, v[48:49]
	v_add_f64_e32 v[88:89], v[58:59], v[62:63]
	v_add_f64_e32 v[48:49], v[48:49], v[56:57]
	s_delay_alu instid0(VALU_DEP_2) | instskip(SKIP_2) | instid1(VALU_DEP_4)
	v_fma_f64 v[102:103], v[88:89], -0.5, v[50:51]
	v_add_f64_e32 v[50:51], v[50:51], v[58:59]
	v_add_f64_e64 v[58:59], v[58:59], -v[62:63]
	v_add_f64_e32 v[88:89], v[48:49], v[60:61]
	v_add_f64_e64 v[48:49], v[56:57], -v[60:61]
	v_add_f64_e64 v[56:57], v[66:67], -v[70:71]
	;; [unrolled: 1-line block ×3, first 2 shown]
	v_add_f64_e32 v[90:91], v[50:51], v[62:63]
	v_fma_f64 v[92:93], v[58:59], s[2:3], v[94:95]
	v_fma_f64 v[100:101], v[58:59], s[8:9], v[94:95]
	;; [unrolled: 1-line block ×4, first 2 shown]
	v_add_f64_e32 v[48:49], v[64:65], v[68:69]
	v_add_f64_e32 v[50:51], v[66:67], v[70:71]
	;; [unrolled: 1-line block ×3, first 2 shown]
	s_wait_dscnt 0x0
	s_delay_alu instid0(VALU_DEP_3) | instskip(SKIP_1) | instid1(VALU_DEP_4)
	v_fma_f64 v[48:49], v[48:49], -0.5, v[52:53]
	v_add_f64_e32 v[52:53], v[52:53], v[64:65]
	v_fma_f64 v[50:51], v[50:51], -0.5, v[54:55]
	v_add_f64_e32 v[54:55], v[54:55], v[66:67]
	s_delay_alu instid0(VALU_DEP_4) | instskip(NEXT) | instid1(VALU_DEP_4)
	v_fma_f64 v[112:113], v[56:57], s[2:3], v[48:49]
	v_add_f64_e32 v[104:105], v[52:53], v[68:69]
	v_add_f64_e64 v[52:53], v[64:65], -v[68:69]
	v_fma_f64 v[116:117], v[56:57], s[8:9], v[48:49]
	v_add_f64_e32 v[56:57], v[72:73], v[80:81]
	v_add_f64_e32 v[106:107], v[54:55], v[70:71]
	v_add_f64_e64 v[68:69], v[190:191], -v[194:195]
	v_fma_f64 v[114:115], v[52:53], s[8:9], v[50:51]
	v_fma_f64 v[118:119], v[52:53], s[2:3], v[50:51]
	ds_load_b128 v[48:51], v255 offset:1632
	ds_load_b128 v[52:55], v255 offset:2448
	s_wait_dscnt 0x1
	v_fma_f64 v[56:57], v[56:57], -0.5, v[48:49]
	v_add_f64_e32 v[48:49], v[48:49], v[72:73]
	v_fma_f64 v[58:59], v[58:59], -0.5, v[50:51]
	v_add_f64_e32 v[50:51], v[50:51], v[74:75]
	s_delay_alu instid0(VALU_DEP_4) | instskip(NEXT) | instid1(VALU_DEP_4)
	v_fma_f64 v[124:125], v[60:61], s[2:3], v[56:57]
	v_add_f64_e32 v[120:121], v[48:49], v[80:81]
	v_add_f64_e64 v[48:49], v[72:73], -v[80:81]
	s_delay_alu instid0(VALU_DEP_4)
	v_add_f64_e32 v[122:123], v[50:51], v[82:83]
	v_add_f64_e32 v[50:51], v[86:87], v[132:133]
	v_fma_f64 v[128:129], v[60:61], s[8:9], v[56:57]
	v_add_f64_e64 v[56:57], v[86:87], -v[132:133]
	v_add_f64_e64 v[60:61], v[144:145], -v[180:181]
	;; [unrolled: 1-line block ×4, first 2 shown]
	v_fma_f64 v[126:127], v[48:49], s[8:9], v[58:59]
	v_fma_f64 v[130:131], v[48:49], s[2:3], v[58:59]
	v_add_f64_e32 v[48:49], v[84:85], v[136:137]
	s_wait_dscnt 0x0
	v_fma_f64 v[50:51], v[50:51], -0.5, v[54:55]
	v_add_f64_e32 v[54:55], v[54:55], v[86:87]
	v_add_f64_e32 v[58:59], v[144:145], v[180:181]
	s_delay_alu instid0(VALU_DEP_4) | instskip(SKIP_1) | instid1(VALU_DEP_4)
	v_fma_f64 v[48:49], v[48:49], -0.5, v[52:53]
	v_add_f64_e32 v[52:53], v[52:53], v[84:85]
	v_add_f64_e32 v[134:135], v[54:55], v[132:133]
	s_delay_alu instid0(VALU_DEP_3) | instskip(NEXT) | instid1(VALU_DEP_3)
	v_fma_f64 v[140:141], v[56:57], s[8:9], v[48:49]
	v_add_f64_e32 v[132:133], v[52:53], v[136:137]
	v_add_f64_e64 v[52:53], v[84:85], -v[136:137]
	v_fma_f64 v[136:137], v[56:57], s[2:3], v[48:49]
	v_add_f64_e32 v[56:57], v[176:177], v[178:179]
	v_add_f64_e64 v[84:85], v[212:213], -v[218:219]
	s_delay_alu instid0(VALU_DEP_4)
	v_fma_f64 v[138:139], v[52:53], s[8:9], v[50:51]
	v_fma_f64 v[142:143], v[52:53], s[2:3], v[50:51]
	ds_load_b128 v[48:51], v255 offset:3264
	ds_load_b128 v[52:55], v255 offset:4080
	s_wait_dscnt 0x1
	v_fma_f64 v[56:57], v[56:57], -0.5, v[48:49]
	v_add_f64_e32 v[48:49], v[48:49], v[176:177]
	v_fma_f64 v[58:59], v[58:59], -0.5, v[50:51]
	v_add_f64_e32 v[50:51], v[50:51], v[144:145]
	s_delay_alu instid0(VALU_DEP_4) | instskip(NEXT) | instid1(VALU_DEP_4)
	v_fma_f64 v[148:149], v[60:61], s[2:3], v[56:57]
	v_add_f64_e32 v[144:145], v[48:49], v[178:179]
	v_add_f64_e64 v[48:49], v[176:177], -v[178:179]
	s_delay_alu instid0(VALU_DEP_4)
	v_add_f64_e32 v[146:147], v[50:51], v[180:181]
	v_add_f64_e32 v[50:51], v[182:183], v[188:189]
	v_fma_f64 v[176:177], v[60:61], s[8:9], v[56:57]
	v_add_f64_e64 v[56:57], v[182:183], -v[188:189]
	v_add_f64_e64 v[60:61], v[192:193], -v[196:197]
	v_fma_f64 v[150:151], v[48:49], s[8:9], v[58:59]
	v_fma_f64 v[178:179], v[48:49], s[2:3], v[58:59]
	v_add_f64_e32 v[48:49], v[184:185], v[186:187]
	s_wait_dscnt 0x0
	v_fma_f64 v[50:51], v[50:51], -0.5, v[54:55]
	v_add_f64_e32 v[54:55], v[54:55], v[182:183]
	s_delay_alu instid0(VALU_DEP_3) | instskip(SKIP_1) | instid1(VALU_DEP_3)
	v_fma_f64 v[48:49], v[48:49], -0.5, v[52:53]
	v_add_f64_e32 v[52:53], v[52:53], v[184:185]
	v_add_f64_e32 v[182:183], v[54:55], v[188:189]
	v_add_f64_e64 v[188:189], v[210:211], -v[214:215]
	s_delay_alu instid0(VALU_DEP_4) | instskip(NEXT) | instid1(VALU_DEP_4)
	v_fma_f64 v[0:1], v[56:57], s[8:9], v[48:49]
	v_add_f64_e32 v[180:181], v[52:53], v[186:187]
	v_add_f64_e64 v[52:53], v[184:185], -v[186:187]
	v_fma_f64 v[184:185], v[56:57], s[2:3], v[48:49]
	v_add_f64_e32 v[56:57], v[190:191], v[194:195]
	s_delay_alu instid0(VALU_DEP_3)
	v_fma_f64 v[186:187], v[52:53], s[8:9], v[50:51]
	v_fma_f64 v[2:3], v[52:53], s[2:3], v[50:51]
	ds_load_b128 v[52:55], v255 offset:4896
	ds_load_b128 v[64:67], v255 offset:5712
	ds_store_b128 v255, v[88:91]
	ds_store_b128 v255, v[104:107] offset:816
	ds_store_b128 v255, v[120:123] offset:1632
	;; [unrolled: 1-line block ×16, first 2 shown]
	s_wait_dscnt 0x12
	v_fma_f64 v[58:59], v[56:57], -0.5, v[52:53]
	v_add_f64_e32 v[56:57], v[192:193], v[196:197]
	v_add_f64_e32 v[52:53], v[52:53], v[190:191]
	v_lshlrev_b32_e32 v112, 4, v163
	scratch_store_b128 off, v[0:3], off offset:1312 ; 16-byte Folded Spill
	v_fma_f64 v[8:9], v[60:61], s[2:3], v[58:59]
	v_fma_f64 v[62:63], v[56:57], -0.5, v[54:55]
	v_add_f64_e32 v[54:55], v[54:55], v[192:193]
	v_add_f64_e32 v[4:5], v[52:53], v[194:195]
	v_fma_f64 v[12:13], v[60:61], s[8:9], v[58:59]
	s_delay_alu instid0(VALU_DEP_4)
	v_fma_f64 v[10:11], v[68:69], s[8:9], v[62:63]
	v_fma_f64 v[14:15], v[68:69], s[2:3], v[62:63]
	v_add_f64_e32 v[68:69], v[198:199], v[206:207]
	v_add_f64_e32 v[6:7], v[54:55], v[196:197]
	ds_store_b128 v255, v[0:3] offset:18768
	s_clause 0x1
	scratch_store_b128 off, v[8:11], off offset:1344
	scratch_store_b128 off, v[12:15], off offset:1360
	s_wait_dscnt 0x12
	v_fma_f64 v[70:71], v[68:69], -0.5, v[64:65]
	v_add_f64_e32 v[68:69], v[204:205], v[208:209]
	v_add_f64_e32 v[64:65], v[64:65], v[198:199]
	scratch_store_b128 off, v[4:7], off offset:1328 ; 16-byte Folded Spill
	ds_store_b128 v255, v[8:11] offset:12240
	ds_store_b128 v255, v[12:15] offset:19584
	v_fma_f64 v[20:21], v[72:73], s[2:3], v[70:71]
	v_fma_f64 v[74:75], v[68:69], -0.5, v[66:67]
	v_add_f64_e32 v[66:67], v[66:67], v[204:205]
	v_add_f64_e32 v[16:17], v[64:65], v[206:207]
	v_fma_f64 v[24:25], v[72:73], s[8:9], v[70:71]
	s_delay_alu instid0(VALU_DEP_4)
	v_fma_f64 v[22:23], v[80:81], s[8:9], v[74:75]
	v_fma_f64 v[26:27], v[80:81], s[2:3], v[74:75]
	v_add_f64_e32 v[80:81], v[210:211], v[214:215]
	v_add_f64_e32 v[18:19], v[66:67], v[208:209]
	ds_store_b128 v255, v[4:7] offset:4896
	s_clause 0x1
	scratch_store_b128 off, v[20:23], off offset:1392
	scratch_store_b128 off, v[24:27], off offset:1408
	v_fma_f64 v[82:83], v[80:81], -0.5, v[76:77]
	ds_store_b128 v255, v[16:19] offset:5712
	v_add_f64_e32 v[80:81], v[212:213], v[218:219]
	v_add_f64_e32 v[76:77], v[76:77], v[210:211]
	scratch_store_b128 off, v[16:19], off offset:1376 ; 16-byte Folded Spill
	v_fma_f64 v[32:33], v[84:85], s[2:3], v[82:83]
	v_fma_f64 v[36:37], v[84:85], s[8:9], v[82:83]
	v_fma_f64 v[86:87], v[80:81], -0.5, v[78:79]
	v_add_f64_e32 v[78:79], v[78:79], v[212:213]
	v_add_f64_e32 v[28:29], v[76:77], v[214:215]
	s_delay_alu instid0(VALU_DEP_3) | instskip(NEXT) | instid1(VALU_DEP_3)
	v_fma_f64 v[34:35], v[188:189], s[8:9], v[86:87]
	v_add_f64_e32 v[30:31], v[78:79], v[218:219]
	v_fma_f64 v[38:39], v[188:189], s[2:3], v[86:87]
	ds_store_b128 v255, v[24:27] offset:20400
	ds_store_b128 v255, v[20:23] offset:13056
	;; [unrolled: 1-line block ×3, first 2 shown]
	scratch_store_b128 off, v[28:31], off offset:1424 ; 16-byte Folded Spill
	ds_store_b128 v255, v[28:31] offset:6528
	s_clause 0x1
	scratch_store_b128 off, v[32:35], off offset:1440
	scratch_store_b128 off, v[36:39], off offset:1456
	ds_store_b128 v255, v[36:39] offset:21216
	global_wb scope:SCOPE_SE
	s_wait_storecnt_dscnt 0x0
	s_barrier_signal -1
	s_barrier_wait -1
	global_inv scope:SCOPE_SE
	scratch_load_b64 v[0:1], off, off offset:4 ; 8-byte Folded Reload
	s_wait_loadcnt 0x0
	global_load_b128 v[90:93], v[0:1], off offset:22032
	ds_load_b128 v[100:103], v255
	ds_load_b128 v[104:107], v255 offset:1296
	s_wait_loadcnt_dscnt 0x1
	v_mul_f64_e32 v[88:89], v[102:103], v[92:93]
	v_mul_f64_e32 v[92:93], v[100:101], v[92:93]
	s_delay_alu instid0(VALU_DEP_2) | instskip(NEXT) | instid1(VALU_DEP_2)
	v_fma_f64 v[88:89], v[100:101], v[90:91], -v[88:89]
	v_fma_f64 v[90:91], v[102:103], v[90:91], v[92:93]
	s_clause 0x1
	global_load_b128 v[100:103], v112, s[0:1] offset:1296
	global_load_b128 v[113:116], v112, s[0:1] offset:2592
	s_wait_loadcnt_dscnt 0x100
	v_mul_f64_e32 v[92:93], v[106:107], v[102:103]
	v_mul_f64_e32 v[94:95], v[104:105], v[102:103]
	s_delay_alu instid0(VALU_DEP_2) | instskip(NEXT) | instid1(VALU_DEP_2)
	v_fma_f64 v[92:93], v[104:105], v[100:101], -v[92:93]
	v_fma_f64 v[94:95], v[106:107], v[100:101], v[94:95]
	ds_load_b128 v[100:103], v255 offset:2592
	ds_load_b128 v[104:107], v255 offset:3888
	s_wait_loadcnt_dscnt 0x1
	v_mul_f64_e32 v[117:118], v[102:103], v[115:116]
	v_mul_f64_e32 v[115:116], v[100:101], v[115:116]
	s_delay_alu instid0(VALU_DEP_2) | instskip(NEXT) | instid1(VALU_DEP_2)
	v_fma_f64 v[100:101], v[100:101], v[113:114], -v[117:118]
	v_fma_f64 v[102:103], v[102:103], v[113:114], v[115:116]
	s_clause 0x1
	global_load_b128 v[113:116], v112, s[0:1] offset:3888
	global_load_b128 v[117:120], v112, s[0:1] offset:5184
	s_wait_loadcnt_dscnt 0x100
	v_mul_f64_e32 v[121:122], v[106:107], v[115:116]
	v_mul_f64_e32 v[115:116], v[104:105], v[115:116]
	s_delay_alu instid0(VALU_DEP_2) | instskip(NEXT) | instid1(VALU_DEP_2)
	v_fma_f64 v[104:105], v[104:105], v[113:114], -v[121:122]
	v_fma_f64 v[106:107], v[106:107], v[113:114], v[115:116]
	ds_load_b128 v[113:116], v255 offset:5184
	;; [unrolled: 17-line block ×4, first 2 shown]
	ds_load_b128 v[141:144], v255 offset:11664
	s_wait_loadcnt_dscnt 0x1
	v_mul_f64_e32 v[117:118], v[135:136], v[139:140]
	v_mul_f64_e32 v[127:128], v[133:134], v[139:140]
	s_delay_alu instid0(VALU_DEP_2) | instskip(NEXT) | instid1(VALU_DEP_2)
	v_fma_f64 v[133:134], v[133:134], v[137:138], -v[117:118]
	v_fma_f64 v[135:136], v[135:136], v[137:138], v[127:128]
	s_clause 0x1
	global_load_b128 v[137:140], v112, s[0:1] offset:11664
	global_load_b128 v[145:148], v112, s[0:1] offset:12960
	ds_load_b128 v[176:179], v255 offset:12960
	ds_load_b128 v[180:183], v255 offset:14256
	s_wait_loadcnt_dscnt 0x102
	v_mul_f64_e32 v[117:118], v[143:144], v[139:140]
	v_mul_f64_e32 v[127:128], v[141:142], v[139:140]
	s_delay_alu instid0(VALU_DEP_2) | instskip(NEXT) | instid1(VALU_DEP_2)
	v_fma_f64 v[139:140], v[141:142], v[137:138], -v[117:118]
	v_fma_f64 v[141:142], v[143:144], v[137:138], v[127:128]
	s_wait_loadcnt_dscnt 0x1
	v_mul_f64_e32 v[117:118], v[178:179], v[147:148]
	v_mul_f64_e32 v[127:128], v[176:177], v[147:148]
	s_delay_alu instid0(VALU_DEP_2) | instskip(NEXT) | instid1(VALU_DEP_2)
	v_fma_f64 v[143:144], v[176:177], v[145:146], -v[117:118]
	v_fma_f64 v[145:146], v[178:179], v[145:146], v[127:128]
	s_clause 0x1
	global_load_b128 v[147:150], v112, s[0:1] offset:14256
	global_load_b128 v[176:179], v112, s[0:1] offset:15552
	s_wait_loadcnt_dscnt 0x100
	v_mul_f64_e32 v[117:118], v[182:183], v[149:150]
	v_mul_f64_e32 v[127:128], v[180:181], v[149:150]
	s_delay_alu instid0(VALU_DEP_2) | instskip(NEXT) | instid1(VALU_DEP_2)
	v_fma_f64 v[180:181], v[180:181], v[147:148], -v[117:118]
	v_fma_f64 v[182:183], v[182:183], v[147:148], v[127:128]
	ds_load_b128 v[147:150], v255 offset:15552
	ds_load_b128 v[184:187], v255 offset:16848
	s_wait_loadcnt_dscnt 0x1
	v_mul_f64_e32 v[117:118], v[149:150], v[178:179]
	v_mul_f64_e32 v[127:128], v[147:148], v[178:179]
	s_delay_alu instid0(VALU_DEP_2) | instskip(NEXT) | instid1(VALU_DEP_2)
	v_fma_f64 v[147:148], v[147:148], v[176:177], -v[117:118]
	v_fma_f64 v[149:150], v[149:150], v[176:177], v[127:128]
	s_clause 0x1
	global_load_b128 v[176:179], v112, s[0:1] offset:16848
	global_load_b128 v[188:191], v112, s[0:1] offset:18144
	s_wait_loadcnt_dscnt 0x100
	v_mul_f64_e32 v[117:118], v[186:187], v[178:179]
	v_mul_f64_e32 v[127:128], v[184:185], v[178:179]
	s_delay_alu instid0(VALU_DEP_2) | instskip(NEXT) | instid1(VALU_DEP_2)
	v_fma_f64 v[184:185], v[184:185], v[176:177], -v[117:118]
	v_fma_f64 v[186:187], v[186:187], v[176:177], v[127:128]
	ds_load_b128 v[176:179], v255 offset:18144
	ds_load_b128 v[192:195], v255 offset:19440
	s_wait_loadcnt_dscnt 0x1
	v_mul_f64_e32 v[117:118], v[178:179], v[190:191]
	v_mul_f64_e32 v[127:128], v[176:177], v[190:191]
	s_delay_alu instid0(VALU_DEP_2) | instskip(NEXT) | instid1(VALU_DEP_2)
	v_fma_f64 v[176:177], v[176:177], v[188:189], -v[117:118]
	v_fma_f64 v[178:179], v[178:179], v[188:189], v[127:128]
	s_clause 0x1
	global_load_b128 v[188:191], v112, s[0:1] offset:19440
	global_load_b128 v[196:199], v112, s[0:1] offset:20736
	ds_load_b128 v[208:211], v255 offset:20736
	s_wait_loadcnt_dscnt 0x101
	v_mul_f64_e32 v[117:118], v[194:195], v[190:191]
	v_mul_f64_e32 v[127:128], v[192:193], v[190:191]
	s_delay_alu instid0(VALU_DEP_2) | instskip(NEXT) | instid1(VALU_DEP_2)
	v_fma_f64 v[190:191], v[192:193], v[188:189], -v[117:118]
	v_fma_f64 v[192:193], v[194:195], v[188:189], v[127:128]
	s_wait_loadcnt_dscnt 0x0
	v_mul_f64_e32 v[117:118], v[210:211], v[198:199]
	v_mul_f64_e32 v[127:128], v[208:209], v[198:199]
	s_delay_alu instid0(VALU_DEP_2) | instskip(NEXT) | instid1(VALU_DEP_2)
	v_fma_f64 v[194:195], v[208:209], v[196:197], -v[117:118]
	v_fma_f64 v[196:197], v[210:211], v[196:197], v[127:128]
	ds_store_b128 v255, v[88:91]
	ds_store_b128 v255, v[92:95] offset:1296
	ds_store_b128 v255, v[100:103] offset:2592
	;; [unrolled: 1-line block ×16, first 2 shown]
	s_and_saveexec_b32 s2, vcc_lo
	s_cbranch_execz .LBB0_9
; %bb.8:
	s_wait_alu 0xfffe
	v_add_co_u32 v184, s0, s0, v112
	s_wait_alu 0xf1ff
	v_add_co_ci_u32_e64 v185, null, s1, 0, s0
	s_clause 0x10
	global_load_b128 v[88:91], v[184:185], off offset:816
	global_load_b128 v[92:95], v[184:185], off offset:2112
	;; [unrolled: 1-line block ×17, first 2 shown]
	ds_load_b128 v[188:191], v255 offset:816
	ds_load_b128 v[192:195], v255 offset:2112
	;; [unrolled: 1-line block ×6, first 2 shown]
	s_wait_loadcnt_dscnt 0x1005
	v_mul_f64_e32 v[218:219], v[190:191], v[90:91]
	v_mul_f64_e32 v[90:91], v[188:189], v[90:91]
	s_wait_loadcnt_dscnt 0xf04
	v_mul_f64_e32 v[222:223], v[194:195], v[94:95]
	v_mul_f64_e32 v[94:95], v[192:193], v[94:95]
	;; [unrolled: 3-line block ×5, first 2 shown]
	v_fma_f64 v[188:189], v[188:189], v[88:89], -v[218:219]
	v_fma_f64 v[190:191], v[190:191], v[88:89], v[90:91]
	ds_load_b128 v[88:91], v255 offset:8592
	ds_load_b128 v[218:221], v255 offset:9888
	v_fma_f64 v[192:193], v[192:193], v[92:93], -v[222:223]
	v_fma_f64 v[194:195], v[194:195], v[92:93], v[94:95]
	ds_load_b128 v[92:95], v255 offset:11184
	v_fma_f64 v[196:197], v[196:197], v[100:101], -v[224:225]
	s_wait_loadcnt_dscnt 0xb03
	v_mul_f64_e32 v[222:223], v[214:215], v[118:119]
	v_mul_f64_e32 v[118:119], v[212:213], v[118:119]
	v_fma_f64 v[198:199], v[198:199], v[100:101], v[102:103]
	ds_load_b128 v[100:103], v255 offset:12480
	v_fma_f64 v[208:209], v[208:209], v[104:105], -v[253:254]
	v_fma_f64 v[210:211], v[210:211], v[104:105], v[106:107]
	v_fma_f64 v[104:105], v[204:205], v[112:113], -v[226:227]
	v_fma_f64 v[106:107], v[206:207], v[112:113], v[114:115]
	ds_load_b128 v[112:115], v255 offset:13776
	ds_load_b128 v[204:207], v255 offset:15072
	s_wait_loadcnt_dscnt 0xa05
	v_mul_f64_e32 v[224:225], v[90:91], v[122:123]
	v_mul_f64_e32 v[122:123], v[88:89], v[122:123]
	s_wait_loadcnt_dscnt 0x904
	v_mul_f64_e32 v[253:254], v[220:221], v[126:127]
	v_mul_f64_e32 v[126:127], v[218:219], v[126:127]
	;; [unrolled: 3-line block ×6, first 2 shown]
	v_fma_f64 v[212:213], v[212:213], v[116:117], -v[222:223]
	v_fma_f64 v[214:215], v[214:215], v[116:117], v[118:119]
	v_fma_f64 v[88:89], v[88:89], v[120:121], -v[224:225]
	v_fma_f64 v[90:91], v[90:91], v[120:121], v[122:123]
	ds_load_b128 v[120:123], v255 offset:16368
	v_fma_f64 v[116:117], v[218:219], v[124:125], -v[253:254]
	v_fma_f64 v[118:119], v[220:221], v[124:125], v[126:127]
	ds_load_b128 v[124:127], v255 offset:17664
	ds_load_b128 v[218:221], v255 offset:18960
	v_fma_f64 v[92:93], v[92:93], v[128:129], -v[226:227]
	v_fma_f64 v[94:95], v[94:95], v[128:129], v[130:131]
	ds_load_b128 v[128:131], v255 offset:20256
	ds_load_b128 v[222:225], v255 offset:21552
	v_fma_f64 v[100:101], v[100:101], v[132:133], -v[228:229]
	v_fma_f64 v[102:103], v[102:103], v[132:133], v[134:135]
	v_fma_f64 v[112:113], v[112:113], v[136:137], -v[230:231]
	v_fma_f64 v[114:115], v[114:115], v[136:137], v[138:139]
	;; [unrolled: 2-line block ×3, first 2 shown]
	s_wait_loadcnt_dscnt 0x404
	v_mul_f64_e32 v[226:227], v[122:123], v[146:147]
	v_mul_f64_e32 v[146:147], v[120:121], v[146:147]
	s_wait_loadcnt_dscnt 0x303
	v_mul_f64_e32 v[228:229], v[126:127], v[150:151]
	v_mul_f64_e32 v[150:151], v[124:125], v[150:151]
	;; [unrolled: 3-line block ×5, first 2 shown]
	v_fma_f64 v[120:121], v[120:121], v[144:145], -v[226:227]
	v_fma_f64 v[122:123], v[122:123], v[144:145], v[146:147]
	v_fma_f64 v[124:125], v[124:125], v[148:149], -v[228:229]
	v_fma_f64 v[126:127], v[126:127], v[148:149], v[150:151]
	;; [unrolled: 2-line block ×5, first 2 shown]
	ds_store_b128 v255, v[188:191] offset:816
	ds_store_b128 v255, v[192:195] offset:2112
	;; [unrolled: 1-line block ×17, first 2 shown]
.LBB0_9:
	s_wait_alu 0xfffe
	s_or_b32 exec_lo, exec_lo, s2
	global_wb scope:SCOPE_SE
	s_wait_dscnt 0x0
	s_barrier_signal -1
	s_barrier_wait -1
	global_inv scope:SCOPE_SE
	ds_load_b128 v[116:119], v255
	ds_load_b128 v[184:187], v255 offset:1296
	ds_load_b128 v[4:7], v255 offset:2592
	;; [unrolled: 1-line block ×16, first 2 shown]
	s_and_saveexec_b32 s0, vcc_lo
	s_cbranch_execz .LBB0_11
; %bb.10:
	ds_load_b128 v[0:3], v255 offset:816
	s_wait_dscnt 0x0
	scratch_store_b128 off, v[0:3], off offset:1312 ; 16-byte Folded Spill
	ds_load_b128 v[0:3], v255 offset:2112
	s_wait_dscnt 0x0
	scratch_store_b128 off, v[0:3], off offset:1328 ; 16-byte Folded Spill
	;; [unrolled: 3-line block ×17, first 2 shown]
.LBB0_11:
	s_wait_alu 0xfffe
	s_or_b32 exec_lo, exec_lo, s0
	s_wait_dscnt 0xf
	v_add_f64_e32 v[188:189], v[116:117], v[184:185]
	v_add_f64_e32 v[190:191], v[118:119], v[186:187]
	s_wait_dscnt 0x0
	v_add_f64_e64 v[192:193], v[186:187], -v[10:11]
	v_add_f64_e32 v[198:199], v[184:185], v[8:9]
	v_add_f64_e32 v[196:197], v[186:187], v[10:11]
	v_add_f64_e64 v[194:195], v[184:185], -v[8:9]
	v_add_f64_e32 v[0:1], v[142:143], v[150:151]
	s_mov_b32 s28, 0x5d8e7cdc
	s_mov_b32 s34, 0x7c9e640b
	;; [unrolled: 1-line block ×31, first 2 shown]
	v_add_f64_e32 v[188:189], v[188:189], v[4:5]
	v_add_f64_e32 v[190:191], v[190:191], v[6:7]
	s_wait_alu 0xfffe
	v_mul_f64_e32 v[204:205], s[28:29], v[192:193]
	v_mul_f64_e32 v[206:207], s[38:39], v[192:193]
	;; [unrolled: 1-line block ×8, first 2 shown]
	scratch_store_b64 off, v[0:1], off offset:1504 ; 8-byte Folded Spill
	v_add_f64_e64 v[0:1], v[142:143], -v[150:151]
	v_add_f64_e64 v[192:193], v[178:179], -v[130:131]
	v_mul_f64_e32 v[226:227], s[18:19], v[196:197]
	v_mul_f64_e32 v[238:239], s[22:23], v[196:197]
	;; [unrolled: 1-line block ×3, first 2 shown]
	s_mov_b32 s43, 0x3fe58eea
	s_mov_b32 s45, 0x3feca52d
	;; [unrolled: 1-line block ×15, first 2 shown]
	scratch_store_b128 off, v[8:11], off offset:1488 ; 16-byte Folded Spill
	v_add_f64_e32 v[188:189], v[188:189], v[112:113]
	v_add_f64_e32 v[190:191], v[190:191], v[114:115]
	v_fma_f64 v[228:229], v[198:199], s[0:1], v[204:205]
	v_fma_f64 v[204:205], v[198:199], s[0:1], -v[204:205]
	v_fma_f64 v[230:231], v[198:199], s[2:3], v[206:207]
	v_fma_f64 v[206:207], v[198:199], s[2:3], -v[206:207]
	;; [unrolled: 2-line block ×4, first 2 shown]
	v_fma_f64 v[253:254], v[198:199], s[30:31], v[212:213]
	scratch_store_b64 off, v[0:1], off offset:1512 ; 8-byte Folded Spill
	v_add_f64_e32 v[0:1], v[134:135], v[138:139]
	v_fma_f64 v[212:213], v[198:199], s[30:31], -v[212:213]
	v_fma_f64 v[236:237], v[198:199], s[22:23], v[214:215]
	v_fma_f64 v[214:215], v[198:199], s[22:23], -v[214:215]
	s_wait_alu 0xfffe
	v_fma_f64 v[248:249], v[194:195], s[50:51], v[226:227]
	v_fma_f64 v[226:227], v[194:195], s[26:27], v[226:227]
	;; [unrolled: 1-line block ×6, first 2 shown]
	v_mul_f64_e32 v[170:171], s[14:15], v[192:193]
	v_mul_f64_e32 v[172:173], s[48:49], v[192:193]
	;; [unrolled: 1-line block ×6, first 2 shown]
	v_add_f64_e32 v[188:189], v[188:189], v[176:177]
	v_add_f64_e32 v[190:191], v[190:191], v[178:179]
	;; [unrolled: 1-line block ×8, first 2 shown]
	scratch_store_b64 off, v[0:1], off offset:1520 ; 8-byte Folded Spill
	v_add_f64_e32 v[212:213], v[116:117], v[212:213]
	v_add_f64_e32 v[236:237], v[116:117], v[236:237]
	;; [unrolled: 1-line block ×10, first 2 shown]
	s_delay_alu instid0(VALU_DEP_2) | instskip(NEXT) | instid1(VALU_DEP_2)
	v_add_f64_e32 v[188:189], v[188:189], v[140:141]
	v_add_f64_e32 v[190:191], v[190:191], v[142:143]
	s_delay_alu instid0(VALU_DEP_2) | instskip(NEXT) | instid1(VALU_DEP_2)
	v_add_f64_e32 v[188:189], v[188:189], v[132:133]
	v_add_f64_e32 v[190:191], v[190:191], v[134:135]
	v_add_f64_e64 v[134:135], v[134:135], -v[138:139]
	s_delay_alu instid0(VALU_DEP_3) | instskip(NEXT) | instid1(VALU_DEP_3)
	v_add_f64_e32 v[188:189], v[188:189], v[164:165]
	v_add_f64_e32 v[190:191], v[190:191], v[166:167]
	s_delay_alu instid0(VALU_DEP_2) | instskip(NEXT) | instid1(VALU_DEP_2)
	v_add_f64_e32 v[188:189], v[188:189], v[16:17]
	v_add_f64_e32 v[190:191], v[190:191], v[18:19]
	s_delay_alu instid0(VALU_DEP_2) | instskip(NEXT) | instid1(VALU_DEP_2)
	v_add_f64_e32 v[188:189], v[188:189], v[136:137]
	v_add_f64_e32 v[190:191], v[190:191], v[138:139]
	;; [unrolled: 1-line block ×3, first 2 shown]
	v_add_f64_e64 v[132:133], v[132:133], -v[136:137]
	v_mul_f64_e32 v[136:137], s[0:1], v[196:197]
	v_add_f64_e32 v[184:185], v[188:189], v[148:149]
	v_add_f64_e32 v[186:187], v[190:191], v[150:151]
	;; [unrolled: 1-line block ×5, first 2 shown]
	v_mul_f64_e32 v[150:151], s[2:3], v[196:197]
	v_fma_f64 v[242:243], v[194:195], s[40:41], v[136:137]
	v_fma_f64 v[136:137], v[194:195], s[28:29], v[136:137]
	v_add_f64_e32 v[218:219], v[184:185], v[180:181]
	v_add_f64_e32 v[220:221], v[186:187], v[182:183]
	v_add_f64_e64 v[186:187], v[176:177], -v[128:129]
	v_add_f64_e32 v[184:185], v[144:145], v[180:181]
	v_add_f64_e64 v[176:177], v[144:145], -v[180:181]
	v_add_f64_e64 v[180:181], v[146:147], -v[182:183]
	v_mul_f64_e32 v[182:183], s[8:9], v[196:197]
	v_fma_f64 v[244:245], v[194:195], s[42:43], v[150:151]
	v_fma_f64 v[150:151], v[194:195], s[38:39], v[150:151]
	v_add_f64_e32 v[136:137], v[118:119], v[136:137]
	v_add_f64_e32 v[144:145], v[140:141], v[148:149]
	v_add_f64_e64 v[140:141], v[140:141], -v[148:149]
	v_dual_mov_b32 v149, v19 :: v_dual_mov_b32 v148, v18
	v_dual_mov_b32 v147, v17 :: v_dual_mov_b32 v146, v16
	v_fma_f64 v[100:101], v[190:191], s[30:31], v[172:173]
	v_fma_f64 v[102:103], v[190:191], s[30:31], -v[172:173]
	v_fma_f64 v[172:173], v[190:191], s[0:1], v[174:175]
	v_fma_f64 v[174:175], v[190:191], s[0:1], -v[174:175]
	;; [unrolled: 2-line block ×5, first 2 shown]
	v_add_f64_e32 v[128:129], v[218:219], v[128:129]
	v_add_f64_e32 v[130:131], v[220:221], v[130:131]
	v_fma_f64 v[218:219], v[198:199], s[20:21], v[222:223]
	v_fma_f64 v[220:221], v[198:199], s[20:21], -v[222:223]
	v_fma_f64 v[222:223], v[198:199], s[24:25], v[224:225]
	v_fma_f64 v[198:199], v[198:199], s[24:25], -v[224:225]
	v_mul_f64_e32 v[224:225], s[30:31], v[196:197]
	v_mul_f64_e32 v[196:197], s[24:25], v[196:197]
	v_fma_f64 v[246:247], v[194:195], s[44:45], v[182:183]
	v_fma_f64 v[182:183], v[194:195], s[34:35], v[182:183]
	v_add_f64_e32 v[150:151], v[118:119], v[150:151]
	v_add_f64_e32 v[20:21], v[116:117], v[218:219]
	;; [unrolled: 1-line block ×4, first 2 shown]
	v_fma_f64 v[250:251], v[194:195], s[48:49], v[224:225]
	v_fma_f64 v[224:225], v[194:195], s[36:37], v[224:225]
	;; [unrolled: 1-line block ×4, first 2 shown]
	v_add_f64_e32 v[194:195], v[116:117], v[228:229]
	v_add_f64_e32 v[196:197], v[118:119], v[242:243]
	;; [unrolled: 1-line block ×10, first 2 shown]
	v_add_f64_e64 v[114:115], v[114:115], -v[126:127]
	v_add_f64_e32 v[126:127], v[130:131], v[126:127]
	v_add_f64_e32 v[130:131], v[4:5], v[120:121]
	v_add_f64_e64 v[253:254], v[4:5], -v[120:121]
	v_add_f64_e32 v[248:249], v[118:119], v[250:251]
	v_add_f64_e32 v[224:225], v[118:119], v[224:225]
	;; [unrolled: 1-line block ×5, first 2 shown]
	v_add_f64_e64 v[112:113], v[112:113], -v[124:125]
	v_add_f64_e32 v[124:125], v[128:129], v[124:125]
	v_add_f64_e64 v[128:129], v[6:7], -v[122:123]
	v_add_f64_e32 v[250:251], v[6:7], v[122:123]
	v_mul_f64_e32 v[86:87], s[8:9], v[198:199]
	v_mul_f64_e32 v[58:59], s[34:35], v[114:115]
	;; [unrolled: 1-line block ×14, first 2 shown]
	v_add_f64_e32 v[0:1], v[124:125], v[120:121]
	v_mul_f64_e32 v[120:121], s[38:39], v[128:129]
	v_mul_f64_e32 v[124:125], s[16:17], v[128:129]
	;; [unrolled: 1-line block ×13, first 2 shown]
	v_fma_f64 v[76:77], v[118:119], s[30:31], v[62:63]
	v_fma_f64 v[62:63], v[118:119], s[30:31], -v[62:63]
	v_fma_f64 v[78:79], v[118:119], s[2:3], v[64:65]
	v_fma_f64 v[64:65], v[118:119], s[2:3], -v[64:65]
	v_fma_f64 v[80:81], v[118:119], s[0:1], v[66:67]
	v_fma_f64 v[66:67], v[118:119], s[0:1], -v[66:67]
	v_fma_f64 v[82:83], v[118:119], s[18:19], v[68:69]
	v_fma_f64 v[68:69], v[118:119], s[18:19], -v[68:69]
	v_fma_f64 v[84:85], v[118:119], s[20:21], v[70:71]
	v_fma_f64 v[70:71], v[118:119], s[20:21], -v[70:71]
	v_fma_f64 v[158:159], v[112:113], s[14:15], v[96:97]
	v_fma_f64 v[96:97], v[112:113], s[54:55], v[96:97]
	;; [unrolled: 1-line block ×9, first 2 shown]
	scratch_store_b64 off, v[0:1], off offset:1472 ; 8-byte Folded Spill
	v_add_f64_e32 v[0:1], v[126:127], v[122:123]
	v_mul_f64_e32 v[122:123], s[26:27], v[128:129]
	v_mul_f64_e32 v[126:127], s[14:15], v[128:129]
	scratch_store_b64 off, v[20:21], off offset:1528 ; 8-byte Folded Spill
	v_fma_f64 v[128:129], v[130:131], s[2:3], v[120:121]
	v_fma_f64 v[120:121], v[130:131], s[2:3], -v[120:121]
	v_fma_f64 v[20:21], v[130:131], s[30:31], v[6:7]
	v_fma_f64 v[6:7], v[130:131], s[30:31], -v[6:7]
	v_fma_f64 v[44:45], v[253:254], s[54:55], v[30:31]
	v_fma_f64 v[30:31], v[253:254], s[14:15], v[30:31]
	;; [unrolled: 1-line block ×11, first 2 shown]
	v_fma_f64 v[8:9], v[130:131], s[8:9], -v[8:9]
	v_fma_f64 v[24:25], v[130:131], s[0:1], v[10:11]
	v_fma_f64 v[10:11], v[130:131], s[0:1], -v[10:11]
	scratch_store_b64 off, v[0:1], off offset:1480 ; 8-byte Folded Spill
	v_fma_f64 v[12:13], v[130:131], s[18:19], v[122:123]
	v_fma_f64 v[14:15], v[130:131], s[18:19], -v[122:123]
	v_fma_f64 v[122:123], v[130:131], s[22:23], v[124:125]
	v_fma_f64 v[124:125], v[130:131], s[22:23], -v[124:125]
	;; [unrolled: 2-line block ×4, first 2 shown]
	v_mul_f64_e32 v[130:131], s[18:19], v[250:251]
	v_fma_f64 v[250:251], v[253:254], s[42:43], v[26:27]
	v_fma_f64 v[26:27], v[253:254], s[38:39], v[26:27]
	;; [unrolled: 1-line block ×4, first 2 shown]
	v_add_f64_e32 v[128:129], v[128:129], v[194:195]
	v_add_f64_e32 v[52:53], v[52:53], v[200:201]
	;; [unrolled: 1-line block ×3, first 2 shown]
	v_mul_f64_e32 v[194:195], s[0:1], v[188:189]
	v_mul_f64_e32 v[200:201], s[20:21], v[188:189]
	;; [unrolled: 1-line block ×3, first 2 shown]
	v_add_f64_e32 v[120:121], v[120:121], v[204:205]
	v_add_f64_e32 v[30:31], v[30:31], v[226:227]
	;; [unrolled: 1-line block ×22, first 2 shown]
	v_fma_f64 v[40:41], v[253:254], s[50:51], v[130:131]
	v_fma_f64 v[42:43], v[253:254], s[26:27], v[130:131]
	;; [unrolled: 1-line block ×4, first 2 shown]
	v_mul_f64_e32 v[253:254], s[16:17], v[114:115]
	v_fma_f64 v[114:115], v[118:119], s[8:9], v[58:59]
	v_fma_f64 v[58:59], v[118:119], s[8:9], -v[58:59]
	v_add_f64_e32 v[26:27], v[26:27], v[136:137]
	v_mul_f64_e32 v[136:137], s[18:19], v[188:189]
	v_fma_f64 v[210:211], v[186:187], s[28:29], v[194:195]
	v_fma_f64 v[194:195], v[186:187], s[40:41], v[194:195]
	;; [unrolled: 1-line block ×6, first 2 shown]
	v_add_f64_e32 v[52:53], v[0:1], v[52:53]
	v_add_f64_e32 v[24:25], v[84:85], v[24:25]
	;; [unrolled: 1-line block ×7, first 2 shown]
	v_mul_f64_e32 v[84:85], s[8:9], v[178:179]
	v_add_f64_e32 v[32:33], v[108:109], v[32:33]
	v_add_f64_e32 v[20:21], v[80:81], v[20:21]
	;; [unrolled: 1-line block ×3, first 2 shown]
	v_mul_f64_e32 v[66:67], s[52:53], v[180:181]
	v_mul_f64_e32 v[80:81], s[14:15], v[180:181]
	v_add_f64_e32 v[34:35], v[110:111], v[34:35]
	v_add_f64_e32 v[46:47], v[162:163], v[46:47]
	;; [unrolled: 1-line block ×3, first 2 shown]
	v_mul_f64_e32 v[98:99], s[16:17], v[180:181]
	v_add_f64_e32 v[36:37], v[152:153], v[36:37]
	v_add_f64_e32 v[16:17], v[76:77], v[16:17]
	;; [unrolled: 1-line block ×5, first 2 shown]
	v_mul_f64_e32 v[64:65], s[36:37], v[180:181]
	v_add_f64_e32 v[42:43], v[42:43], v[150:151]
	v_mul_f64_e32 v[150:151], s[24:25], v[188:189]
	v_add_f64_e32 v[28:29], v[28:29], v[182:183]
	v_fma_f64 v[72:73], v[118:119], s[22:23], v[253:254]
	v_fma_f64 v[74:75], v[118:119], s[22:23], -v[253:254]
	v_fma_f64 v[253:254], v[118:119], s[24:25], v[60:61]
	v_fma_f64 v[60:61], v[118:119], s[24:25], -v[60:61]
	v_mul_f64_e32 v[118:119], s[22:23], v[198:199]
	v_fma_f64 v[198:199], v[112:113], s[44:45], v[86:87]
	v_fma_f64 v[86:87], v[112:113], s[34:35], v[86:87]
	v_mul_f64_e32 v[182:183], s[30:31], v[188:189]
	v_fma_f64 v[204:205], v[186:187], s[50:51], v[136:137]
	v_fma_f64 v[136:137], v[186:187], s[26:27], v[136:137]
	v_add_f64_e32 v[130:131], v[130:131], v[242:243]
	v_add_f64_e32 v[104:105], v[114:115], v[128:129]
	v_mul_f64_e32 v[78:79], s[34:35], v[180:181]
	v_add_f64_e32 v[58:59], v[58:59], v[120:121]
	v_add_f64_e32 v[40:41], v[40:41], v[230:231]
	v_mul_f64_e32 v[76:77], s[42:43], v[180:181]
	v_add_f64_e32 v[8:9], v[90:91], v[8:9]
	v_add_f64_e32 v[30:31], v[194:195], v[30:31]
	;; [unrolled: 1-line block ×4, first 2 shown]
	v_fma_f64 v[110:111], v[184:185], s[20:21], v[66:67]
	v_mul_f64_e32 v[88:89], s[24:25], v[178:179]
	v_fma_f64 v[66:67], v[184:185], s[20:21], -v[66:67]
	v_add_f64_e32 v[34:35], v[200:201], v[34:35]
	v_add_f64_e32 v[44:45], v[210:211], v[44:45]
	;; [unrolled: 1-line block ×8, first 2 shown]
	v_mul_f64_e32 v[52:53], s[30:31], v[178:179]
	v_fma_f64 v[206:207], v[186:187], s[54:55], v[150:151]
	v_fma_f64 v[150:151], v[186:187], s[14:15], v[150:151]
	v_mul_f64_e32 v[62:63], s[20:21], v[178:179]
	v_add_f64_e32 v[14:15], v[74:75], v[14:15]
	v_add_f64_e32 v[12:13], v[72:73], v[12:13]
	;; [unrolled: 1-line block ×3, first 2 shown]
	v_fma_f64 v[156:157], v[112:113], s[46:47], v[118:119]
	v_fma_f64 v[118:119], v[112:113], s[16:17], v[118:119]
	;; [unrolled: 1-line block ×3, first 2 shown]
	v_mul_f64_e32 v[154:155], s[26:27], v[192:193]
	v_mul_f64_e32 v[192:193], s[42:43], v[192:193]
	v_fma_f64 v[208:209], v[186:187], s[36:37], v[182:183]
	v_fma_f64 v[182:183], v[186:187], s[48:49], v[182:183]
	v_add_f64_e32 v[74:75], v[158:159], v[130:131]
	v_fma_f64 v[108:109], v[184:185], s[30:31], v[64:65]
	v_add_f64_e32 v[28:29], v[96:97], v[28:29]
	v_fma_f64 v[116:117], v[184:185], s[8:9], v[78:79]
	v_fma_f64 v[78:79], v[184:185], s[8:9], -v[78:79]
	v_add_f64_e32 v[26:27], v[86:87], v[26:27]
	v_mul_f64_e32 v[86:87], s[50:51], v[180:181]
	v_add_f64_e32 v[72:73], v[253:254], v[122:123]
	v_fma_f64 v[64:65], v[184:185], s[30:31], -v[64:65]
	v_fma_f64 v[114:115], v[184:185], s[2:3], v[76:77]
	v_fma_f64 v[76:77], v[184:185], s[2:3], -v[76:77]
	v_mul_f64_e32 v[96:97], s[28:29], v[180:181]
	v_fma_f64 v[126:127], v[176:177], s[54:55], v[88:89]
	v_fma_f64 v[88:89], v[176:177], s[14:15], v[88:89]
	;; [unrolled: 1-line block ×3, first 2 shown]
	v_fma_f64 v[98:99], v[184:185], s[22:23], -v[98:99]
	v_add_f64_e32 v[60:61], v[102:103], v[60:61]
	v_fma_f64 v[102:103], v[176:177], s[48:49], v[52:53]
	v_add_f64_e32 v[42:43], v[118:119], v[42:43]
	v_add_f64_e32 v[38:39], v[112:113], v[38:39]
	v_fma_f64 v[92:93], v[190:191], s[18:19], v[154:155]
	v_fma_f64 v[94:95], v[190:191], s[18:19], -v[154:155]
	v_fma_f64 v[154:155], v[190:191], s[24:25], v[170:171]
	v_fma_f64 v[170:171], v[190:191], s[24:25], -v[170:171]
	;; [unrolled: 2-line block ×3, first 2 shown]
	v_add_f64_e32 v[192:193], v[250:251], v[196:197]
	v_mul_f64_e32 v[196:197], s[8:9], v[188:189]
	v_mul_f64_e32 v[188:189], s[2:3], v[188:189]
	v_add_f64_e32 v[74:75], v[208:209], v[74:75]
	v_fma_f64 v[112:113], v[176:177], s[44:45], v[84:85]
	v_fma_f64 v[84:85], v[176:177], s[34:35], v[84:85]
	;; [unrolled: 1-line block ×3, first 2 shown]
	v_fma_f64 v[80:81], v[184:185], s[24:25], -v[80:81]
	v_add_f64_e32 v[28:29], v[182:183], v[28:29]
	v_add_f64_e32 v[18:19], v[78:79], v[18:19]
	v_fma_f64 v[120:121], v[184:185], s[18:19], v[86:87]
	v_fma_f64 v[86:87], v[184:185], s[18:19], -v[86:87]
	v_add_f64_e32 v[40:41], v[156:157], v[40:41]
	v_add_f64_e32 v[26:27], v[136:137], v[26:27]
	;; [unrolled: 1-line block ×3, first 2 shown]
	v_fma_f64 v[52:53], v[176:177], s[36:37], v[52:53]
	v_add_f64_e32 v[16:17], v[116:117], v[16:17]
	v_fma_f64 v[122:123], v[184:185], s[0:1], v[96:97]
	v_fma_f64 v[96:97], v[184:185], s[0:1], -v[96:97]
	v_mul_f64_e32 v[100:101], s[22:23], v[178:179]
	v_add_f64_e32 v[60:61], v[76:77], v[60:61]
	v_add_f64_e32 v[42:43], v[150:151], v[42:43]
	v_add_f64_e32 v[68:69], v[92:93], v[104:105]
	v_fma_f64 v[104:105], v[176:177], s[12:13], v[62:63]
	v_fma_f64 v[62:63], v[176:177], s[52:53], v[62:63]
	v_add_f64_e32 v[12:13], v[154:155], v[12:13]
	v_add_f64_e32 v[2:3], v[218:219], v[24:25]
	;; [unrolled: 1-line block ×4, first 2 shown]
	v_fma_f64 v[212:213], v[186:187], s[44:45], v[196:197]
	v_fma_f64 v[196:197], v[186:187], s[34:35], v[196:197]
	v_fma_f64 v[226:227], v[186:187], s[38:39], v[188:189]
	v_fma_f64 v[186:187], v[186:187], s[42:43], v[188:189]
	scratch_load_b64 v[188:189], off, off offset:1528 th:TH_LOAD_LU ; 8-byte Folded Reload
	v_add_f64_e32 v[30:31], v[84:85], v[30:31]
	v_add_f64_e32 v[4:5], v[80:81], v[4:5]
	;; [unrolled: 1-line block ×4, first 2 shown]
	v_mul_f64_e32 v[92:93], s[18:19], v[178:179]
	v_add_f64_e32 v[6:7], v[86:87], v[6:7]
	v_add_f64_e32 v[40:41], v[206:207], v[40:41]
	v_mul_f64_e32 v[94:95], s[0:1], v[178:179]
	v_add_f64_e32 v[48:49], v[118:119], v[48:49]
	v_add_f64_e32 v[26:27], v[52:53], v[26:27]
	;; [unrolled: 1-line block ×5, first 2 shown]
	v_fma_f64 v[136:137], v[176:177], s[46:47], v[100:101]
	v_add_f64_e32 v[10:11], v[190:191], v[10:11]
	v_fma_f64 v[100:101], v[176:177], s[16:17], v[100:101]
	v_add_f64_e32 v[42:43], v[62:63], v[42:43]
	v_add_f64_e32 v[12:13], v[110:111], v[12:13]
	;; [unrolled: 1-line block ×10, first 2 shown]
	v_fma_f64 v[128:129], v[176:177], s[26:27], v[92:93]
	v_fma_f64 v[92:93], v[176:177], s[50:51], v[92:93]
	v_add_f64_e32 v[40:41], v[104:105], v[40:41]
	v_fma_f64 v[130:131], v[176:177], s[40:41], v[94:95]
	v_fma_f64 v[94:95], v[176:177], s[28:29], v[94:95]
	v_add_f64_e32 v[10:11], v[98:99], v[10:11]
	v_add_f64_e32 v[56:57], v[102:103], v[70:71]
	scratch_load_b64 v[70:71], off, off offset:1512 th:TH_LOAD_LU ; 8-byte Folded Reload
	v_add_f64_e32 v[46:47], v[126:127], v[46:47]
	v_add_f64_e32 v[32:33], v[88:89], v[32:33]
	;; [unrolled: 1-line block ×7, first 2 shown]
	s_wait_loadcnt 0x1
	v_add_f64_e32 v[22:23], v[22:23], v[188:189]
	s_delay_alu instid0(VALU_DEP_1) | instskip(SKIP_1) | instid1(VALU_DEP_2)
	v_add_f64_e32 v[22:23], v[82:83], v[22:23]
	v_mul_f64_e32 v[82:83], s[2:3], v[178:179]
	v_add_f64_e32 v[0:1], v[142:143], v[22:23]
	s_delay_alu instid0(VALU_DEP_2)
	v_fma_f64 v[106:107], v[176:177], s[38:39], v[82:83]
	v_add_f64_e32 v[22:23], v[224:225], v[54:55]
	v_add_f64_e32 v[54:55], v[108:109], v[68:69]
	v_fma_f64 v[82:83], v[176:177], s[42:43], v[82:83]
	v_add_f64_e32 v[0:1], v[122:123], v[0:1]
	v_add_f64_e32 v[62:63], v[106:107], v[74:75]
	scratch_load_b64 v[74:75], off, off offset:1504 th:TH_LOAD_LU ; 8-byte Folded Reload
	s_wait_loadcnt 0x1
	v_mul_f64_e32 v[68:69], s[48:49], v[70:71]
	v_add_f64_e32 v[28:29], v[82:83], v[28:29]
	v_mul_f64_e32 v[64:65], s[16:17], v[70:71]
	v_dual_mov_b32 v83, v71 :: v_dual_mov_b32 v82, v70
	v_add_f64_e32 v[22:23], v[130:131], v[22:23]
	s_delay_alu instid0(VALU_DEP_2) | instskip(SKIP_4) | instid1(VALU_DEP_4)
	v_mul_f64_e32 v[76:77], s[28:29], v[82:83]
	v_fma_f64 v[78:79], v[144:145], s[30:31], v[68:69]
	v_fma_f64 v[68:69], v[144:145], s[30:31], -v[68:69]
	v_fma_f64 v[70:71], v[144:145], s[22:23], v[64:65]
	v_fma_f64 v[64:65], v[144:145], s[22:23], -v[64:65]
	v_add_f64_e32 v[12:13], v[78:79], v[12:13]
	s_delay_alu instid0(VALU_DEP_4) | instskip(NEXT) | instid1(VALU_DEP_4)
	v_add_f64_e32 v[14:15], v[68:69], v[14:15]
	v_add_f64_e32 v[54:55], v[70:71], v[54:55]
	s_delay_alu instid0(VALU_DEP_4) | instskip(SKIP_4) | instid1(VALU_DEP_3)
	v_add_f64_e32 v[58:59], v[64:65], v[58:59]
	s_wait_loadcnt 0x0
	v_dual_mov_b32 v85, v75 :: v_dual_mov_b32 v84, v74
	v_mul_f64_e32 v[66:67], s[22:23], v[74:75]
	v_mul_f64_e32 v[72:73], s[30:31], v[74:75]
	v_mul_f64_e32 v[80:81], s[0:1], v[84:85]
	v_mul_f64_e32 v[64:65], s[20:21], v[84:85]
	s_delay_alu instid0(VALU_DEP_4)
	v_fma_f64 v[74:75], v[140:141], s[46:47], v[66:67]
	v_fma_f64 v[66:67], v[140:141], s[16:17], v[66:67]
	;; [unrolled: 1-line block ×6, first 2 shown]
	v_add_f64_e32 v[56:57], v[74:75], v[56:57]
	v_mul_f64_e32 v[74:75], s[12:13], v[82:83]
	v_add_f64_e32 v[26:27], v[66:67], v[26:27]
	v_fma_f64 v[66:67], v[144:145], s[0:1], v[76:77]
	v_fma_f64 v[76:77], v[144:145], s[0:1], -v[76:77]
	v_add_f64_e32 v[28:29], v[80:81], v[28:29]
	v_mul_f64_e32 v[80:81], s[18:19], v[84:85]
	v_add_f64_e32 v[40:41], v[70:71], v[40:41]
	v_mul_f64_e32 v[70:71], s[50:51], v[82:83]
	v_add_f64_e32 v[42:43], v[72:73], v[42:43]
	v_fma_f64 v[72:73], v[140:141], s[52:53], v[64:65]
	v_add_f64_e32 v[62:63], v[78:79], v[62:63]
	v_mul_f64_e32 v[78:79], s[14:15], v[82:83]
	v_fma_f64 v[64:65], v[140:141], s[12:13], v[64:65]
	v_fma_f64 v[68:69], v[144:145], s[20:21], v[74:75]
	v_fma_f64 v[74:75], v[144:145], s[20:21], -v[74:75]
	v_add_f64_e32 v[52:53], v[66:67], v[52:53]
	v_mul_f64_e32 v[66:67], s[38:39], v[82:83]
	v_add_f64_e32 v[60:61], v[76:77], v[60:61]
	v_fma_f64 v[86:87], v[140:141], s[26:27], v[80:81]
	v_mul_f64_e32 v[82:83], s[44:45], v[82:83]
	v_fma_f64 v[76:77], v[144:145], s[18:19], v[70:71]
	v_fma_f64 v[80:81], v[140:141], s[50:51], v[80:81]
	v_add_f64_e32 v[44:45], v[72:73], v[44:45]
	v_add_f64_e32 v[30:31], v[64:65], v[30:31]
	v_fma_f64 v[64:65], v[144:145], s[24:25], v[78:79]
	v_add_f64_e32 v[16:17], v[68:69], v[16:17]
	v_fma_f64 v[68:69], v[144:145], s[18:19], -v[70:71]
	v_add_f64_e32 v[18:19], v[74:75], v[18:19]
	v_fma_f64 v[72:73], v[144:145], s[2:3], v[66:67]
	v_mul_f64_e32 v[70:71], s[2:3], v[84:85]
	v_add_f64_e32 v[46:47], v[86:87], v[46:47]
	scratch_load_b64 v[86:87], off, off offset:1520 th:TH_LOAD_LU ; 8-byte Folded Reload
	v_fma_f64 v[74:75], v[144:145], s[24:25], -v[78:79]
	v_add_f64_e32 v[48:49], v[76:77], v[48:49]
	v_mul_f64_e32 v[76:77], s[24:25], v[84:85]
	v_fma_f64 v[78:79], v[144:145], s[8:9], v[82:83]
	v_mul_f64_e32 v[84:85], s[8:9], v[84:85]
	v_add_f64_e32 v[32:33], v[80:81], v[32:33]
	v_fma_f64 v[66:67], v[144:145], s[2:3], -v[66:67]
	v_fma_f64 v[82:83], v[144:145], s[8:9], -v[82:83]
	v_add_f64_e32 v[0:1], v[64:65], v[0:1]
	v_add_f64_e32 v[4:5], v[68:69], v[4:5]
	v_mul_f64_e32 v[68:69], s[12:13], v[134:135]
	v_add_f64_e32 v[20:21], v[72:73], v[20:21]
	v_fma_f64 v[88:89], v[140:141], s[42:43], v[70:71]
	v_fma_f64 v[70:71], v[140:141], s[38:39], v[70:71]
	v_add_f64_e32 v[8:9], v[74:75], v[8:9]
	v_fma_f64 v[90:91], v[140:141], s[54:55], v[76:77]
	v_add_f64_e32 v[2:3], v[78:79], v[2:3]
	v_fma_f64 v[92:93], v[140:141], s[34:35], v[84:85]
	v_fma_f64 v[76:77], v[140:141], s[14:15], v[76:77]
	v_add_f64_e32 v[6:7], v[66:67], v[6:7]
	v_mul_f64_e32 v[66:67], s[44:45], v[134:135]
	v_fma_f64 v[84:85], v[140:141], s[44:45], v[84:85]
	v_add_f64_e32 v[10:11], v[82:83], v[10:11]
	v_add_f64_e32 v[50:51], v[88:89], v[50:51]
	v_mul_f64_e32 v[88:89], s[46:47], v[134:135]
	v_add_f64_e32 v[34:35], v[70:71], v[34:35]
	v_mul_f64_e32 v[70:71], s[26:27], v[134:135]
	;; [unrolled: 2-line block ×3, first 2 shown]
	v_add_f64_e32 v[24:25], v[92:93], v[24:25]
	v_add_f64_e32 v[36:37], v[76:77], v[36:37]
	v_fma_f64 v[76:77], v[138:139], s[8:9], v[66:67]
	v_fma_f64 v[66:67], v[138:139], s[8:9], -v[66:67]
	v_add_f64_e32 v[38:39], v[84:85], v[38:39]
	v_fma_f64 v[82:83], v[138:139], s[18:19], v[70:71]
	v_fma_f64 v[70:71], v[138:139], s[18:19], -v[70:71]
	v_fma_f64 v[98:99], v[138:139], s[30:31], v[90:91]
	v_fma_f64 v[108:109], v[138:139], s[30:31], -v[90:91]
	v_add_f64_e32 v[12:13], v[76:77], v[12:13]
	v_add_f64_e32 v[14:15], v[66:67], v[14:15]
	v_add_f64_e64 v[66:67], v[166:167], -v[148:149]
	v_add_f64_e32 v[76:77], v[166:167], v[148:149]
	v_add_f64_e32 v[52:53], v[82:83], v[52:53]
	;; [unrolled: 1-line block ×6, first 2 shown]
	v_mul_f64_e32 v[70:71], s[24:25], v[76:77]
	s_wait_loadcnt 0x0
	v_mul_f64_e32 v[72:73], s[20:21], v[86:87]
	v_mul_f64_e32 v[80:81], s[8:9], v[86:87]
	v_dual_mov_b32 v103, v87 :: v_dual_mov_b32 v102, v86
	v_fma_f64 v[86:87], v[138:139], s[20:21], v[68:69]
	v_fma_f64 v[68:69], v[138:139], s[20:21], -v[68:69]
	s_delay_alu instid0(VALU_DEP_3)
	v_mul_f64_e32 v[90:91], s[24:25], v[102:103]
	v_mul_f64_e32 v[64:65], s[18:19], v[102:103]
	;; [unrolled: 1-line block ×4, first 2 shown]
	v_fma_f64 v[74:75], v[132:133], s[52:53], v[72:73]
	v_fma_f64 v[78:79], v[132:133], s[34:35], v[80:81]
	;; [unrolled: 1-line block ×4, first 2 shown]
	v_add_f64_e32 v[54:55], v[86:87], v[54:55]
	v_mul_f64_e32 v[86:87], s[28:29], v[134:135]
	v_add_f64_e32 v[58:59], v[68:69], v[58:59]
	v_mul_f64_e32 v[68:69], s[42:43], v[134:135]
	v_fma_f64 v[110:111], v[132:133], s[54:55], v[90:91]
	v_fma_f64 v[112:113], v[132:133], s[14:15], v[90:91]
	;; [unrolled: 1-line block ×8, first 2 shown]
	v_add_f64_e32 v[56:57], v[74:75], v[56:57]
	v_mul_f64_e32 v[74:75], s[14:15], v[134:135]
	v_add_f64_e32 v[40:41], v[78:79], v[40:41]
	v_add_f64_e32 v[42:43], v[80:81], v[42:43]
	v_fma_f64 v[78:79], v[138:139], s[22:23], v[88:89]
	v_fma_f64 v[80:81], v[138:139], s[22:23], -v[88:89]
	v_fma_f64 v[88:89], v[138:139], s[0:1], v[86:87]
	v_add_f64_e32 v[26:27], v[72:73], v[26:27]
	v_mul_f64_e32 v[72:73], s[22:23], v[102:103]
	v_fma_f64 v[96:97], v[138:139], s[2:3], v[68:69]
	v_add_f64_e32 v[62:63], v[84:85], v[62:63]
	v_add_f64_e32 v[28:29], v[64:65], v[28:29]
	v_mul_f64_e32 v[64:65], s[14:15], v[66:67]
	v_add_f64_e64 v[84:85], v[164:165], -v[146:147]
	v_fma_f64 v[68:69], v[138:139], s[2:3], -v[68:69]
	v_add_f64_e32 v[50:51], v[110:111], v[50:51]
	v_mul_f64_e32 v[110:111], s[20:21], v[76:77]
	v_mul_f64_e32 v[102:103], s[30:31], v[102:103]
	v_add_f64_e32 v[46:47], v[106:107], v[46:47]
	v_add_f64_e32 v[34:35], v[112:113], v[34:35]
	v_fma_f64 v[86:87], v[138:139], s[0:1], -v[86:87]
	v_add_f64_e32 v[32:33], v[94:95], v[32:33]
	v_add_f64_e32 v[22:23], v[114:115], v[22:23]
	;; [unrolled: 1-line block ×3, first 2 shown]
	v_fma_f64 v[92:93], v[138:139], s[24:25], v[74:75]
	v_fma_f64 v[74:75], v[138:139], s[24:25], -v[74:75]
	v_add_f64_e32 v[16:17], v[78:79], v[16:17]
	v_add_f64_e32 v[18:19], v[80:81], v[18:19]
	;; [unrolled: 1-line block ×3, first 2 shown]
	v_mul_f64_e32 v[78:79], s[0:1], v[76:77]
	v_fma_f64 v[104:105], v[132:133], s[16:17], v[72:73]
	v_fma_f64 v[72:73], v[132:133], s[46:47], v[72:73]
	v_add_f64_e32 v[0:1], v[96:97], v[0:1]
	v_mul_f64_e32 v[96:97], s[22:23], v[76:77]
	v_fma_f64 v[80:81], v[82:83], s[24:25], v[64:65]
	v_add_f64_e32 v[8:9], v[68:69], v[8:9]
	v_fma_f64 v[118:119], v[132:133], s[48:49], v[102:103]
	v_fma_f64 v[120:121], v[132:133], s[36:37], v[102:103]
	v_add_f64_e32 v[4:5], v[86:87], v[4:5]
	v_fma_f64 v[86:87], v[84:85], s[54:55], v[70:71]
	v_fma_f64 v[70:71], v[84:85], s[14:15], v[70:71]
	v_add_f64_e32 v[20:21], v[92:93], v[20:21]
	s_clause 0x1
	scratch_load_b64 v[88:89], off, off offset:1472 th:TH_LOAD_LU
	scratch_load_b128 v[90:93], off, off offset:1488 th:TH_LOAD_LU
	v_add_f64_e32 v[6:7], v[74:75], v[6:7]
	v_mul_f64_e32 v[74:75], s[12:13], v[66:67]
	v_fma_f64 v[102:103], v[84:85], s[28:29], v[78:79]
	v_add_f64_e32 v[44:45], v[104:105], v[44:45]
	v_add_f64_e32 v[30:31], v[72:73], v[30:31]
	v_mul_f64_e32 v[72:73], s[40:41], v[66:67]
	v_fma_f64 v[78:79], v[84:85], s[40:41], v[78:79]
	v_add_f64_e32 v[24:25], v[118:119], v[24:25]
	v_add_f64_e32 v[38:39], v[120:121], v[38:39]
	;; [unrolled: 1-line block ×3, first 2 shown]
	v_mul_f64_e32 v[56:57], s[2:3], v[76:77]
	v_add_f64_e32 v[126:127], v[70:71], v[26:27]
	v_add_f64_e32 v[102:103], v[102:103], v[40:41]
	v_mul_f64_e32 v[40:41], s[16:17], v[66:67]
	v_fma_f64 v[100:101], v[82:83], s[0:1], v[72:73]
	v_add_f64_e32 v[130:131], v[78:79], v[42:43]
	v_fma_f64 v[86:87], v[84:85], s[38:39], v[56:57]
	v_fma_f64 v[56:57], v[84:85], s[42:43], v[56:57]
	s_delay_alu instid0(VALU_DEP_4) | instskip(SKIP_1) | instid1(VALU_DEP_4)
	v_add_f64_e32 v[100:101], v[100:101], v[12:13]
	v_fma_f64 v[12:13], v[84:85], s[52:53], v[110:111]
	v_add_f64_e32 v[114:115], v[86:87], v[44:45]
	v_mul_f64_e32 v[44:45], s[8:9], v[76:77]
	v_fma_f64 v[86:87], v[84:85], s[16:17], v[96:97]
	v_add_f64_e32 v[138:139], v[56:57], v[30:31]
	v_add_f64_e32 v[106:107], v[12:13], v[62:63]
	v_mul_f64_e32 v[62:63], s[36:37], v[66:67]
	v_mul_f64_e32 v[12:13], s[44:45], v[66:67]
	v_add_f64_e32 v[142:143], v[86:87], v[32:33]
	s_wait_loadcnt 0x0
	v_add_f64_e32 v[88:89], v[88:89], v[90:91]
	scratch_load_b64 v[90:91], off, off offset:1480 th:TH_LOAD_LU ; 8-byte Folded Reload
	global_wb scope:SCOPE_SE
	s_wait_loadcnt 0x0
	s_wait_storecnt 0x0
	s_barrier_signal -1
	s_barrier_wait -1
	global_inv scope:SCOPE_SE
	v_add_f64_e32 v[90:91], v[90:91], v[92:93]
	v_add_f64_e32 v[92:93], v[80:81], v[54:55]
	v_mul_f64_e32 v[54:55], s[42:43], v[66:67]
	v_fma_f64 v[80:81], v[82:83], s[20:21], v[74:75]
	v_mul_f64_e32 v[66:67], s[50:51], v[66:67]
	s_delay_alu instid0(VALU_DEP_3) | instskip(NEXT) | instid1(VALU_DEP_3)
	v_fma_f64 v[68:69], v[82:83], s[2:3], v[54:55]
	v_add_f64_e32 v[104:105], v[80:81], v[52:53]
	v_fma_f64 v[52:53], v[82:83], s[22:23], v[40:41]
	v_fma_f64 v[80:81], v[82:83], s[8:9], v[12:13]
	v_fma_f64 v[54:55], v[82:83], s[2:3], -v[54:55]
	v_fma_f64 v[40:41], v[82:83], s[22:23], -v[40:41]
	;; [unrolled: 1-line block ×3, first 2 shown]
	v_add_f64_e32 v[112:113], v[68:69], v[16:17]
	v_fma_f64 v[16:17], v[84:85], s[46:47], v[96:97]
	v_mul_f64_e32 v[68:69], s[30:31], v[76:77]
	v_mul_f64_e32 v[76:77], s[18:19], v[76:77]
	v_add_f64_e32 v[116:117], v[52:53], v[48:49]
	v_fma_f64 v[48:49], v[82:83], s[0:1], -v[72:73]
	v_fma_f64 v[52:53], v[82:83], s[20:21], -v[74:75]
	v_fma_f64 v[74:75], v[82:83], s[18:19], v[66:67]
	v_fma_f64 v[66:67], v[82:83], s[18:19], -v[66:67]
	v_fma_f64 v[96:97], v[84:85], s[12:13], v[110:111]
	v_add_f64_e32 v[120:121], v[80:81], v[20:21]
	v_add_f64_e32 v[144:145], v[12:13], v[6:7]
	;; [unrolled: 1-line block ×5, first 2 shown]
	v_fma_f64 v[46:47], v[82:83], s[24:25], -v[64:65]
	v_fma_f64 v[64:65], v[82:83], s[30:31], v[62:63]
	v_fma_f64 v[16:17], v[84:85], s[34:35], v[44:45]
	;; [unrolled: 1-line block ×3, first 2 shown]
	v_fma_f64 v[62:63], v[82:83], s[30:31], -v[62:63]
	v_fma_f64 v[82:83], v[84:85], s[26:27], v[76:77]
	v_fma_f64 v[76:77], v[84:85], s[50:51], v[76:77]
	;; [unrolled: 1-line block ×4, first 2 shown]
	v_add_f64_e32 v[180:181], v[74:75], v[2:3]
	v_add_f64_e32 v[184:185], v[66:67], v[10:11]
	;; [unrolled: 1-line block ×7, first 2 shown]
	scratch_load_b32 v0, off, off offset:628 th:TH_LOAD_LU ; 4-byte Folded Reload
	v_add_f64_e32 v[122:123], v[16:17], v[50:51]
	v_add_f64_e32 v[150:151], v[72:73], v[22:23]
	;; [unrolled: 1-line block ×7, first 2 shown]
	s_wait_loadcnt 0x0
	ds_store_b128 v0, v[88:91]
	ds_store_b128 v0, v[92:95] offset:16
	ds_store_b128 v0, v[100:103] offset:32
	;; [unrolled: 1-line block ×16, first 2 shown]
	s_and_saveexec_b32 s33, vcc_lo
	s_cbranch_execz .LBB0_13
; %bb.12:
	s_clause 0x10
	scratch_load_b128 v[138:141], off, off offset:1312 th:TH_LOAD_LU
	scratch_load_b128 v[60:63], off, off offset:1328 th:TH_LOAD_LU
	;; [unrolled: 1-line block ×17, first 2 shown]
	s_wait_loadcnt 0xf
	v_add_f64_e32 v[0:1], v[140:141], v[62:63]
	v_add_f64_e32 v[2:3], v[138:139], v[60:61]
	s_wait_loadcnt 0x8
	v_add_f64_e64 v[84:85], v[78:79], -v[36:37]
	v_add_f64_e64 v[92:93], v[76:77], -v[34:35]
	s_wait_loadcnt 0x6
	v_add_f64_e64 v[90:91], v[18:19], -v[22:23]
	s_wait_loadcnt 0x5
	;; [unrolled: 2-line block ×3, first 2 shown]
	v_add_f64_e64 v[104:105], v[108:109], -v[38:39]
	v_add_f64_e32 v[100:101], v[108:109], v[38:39]
	s_wait_loadcnt 0x2
	v_add_f64_e64 v[12:13], v[68:69], -v[56:57]
	s_wait_loadcnt 0x1
	v_add_f64_e64 v[6:7], v[62:63], -v[54:55]
	v_add_f64_e64 v[4:5], v[60:61], -v[52:53]
	v_add_f64_e32 v[8:9], v[62:63], v[54:55]
	v_add_f64_e64 v[10:11], v[96:97], -v[44:45]
	v_add_f64_e64 v[88:89], v[20:21], -v[24:25]
	v_add_f64_e32 v[82:83], v[20:21], v[24:25]
	v_add_f64_e32 v[80:81], v[18:19], v[22:23]
	v_add_f64_e64 v[86:87], v[74:75], -v[32:33]
	v_add_f64_e64 v[102:103], v[110:111], -v[40:41]
	v_add_f64_e32 v[106:107], v[110:111], v[40:41]
	s_wait_loadcnt 0x0
	v_add_f64_e32 v[42:43], v[66:67], v[50:51]
	v_add_f64_e32 v[0:1], v[0:1], v[66:67]
	v_add_f64_e32 v[2:3], v[2:3], v[64:65]
	v_mul_f64_e32 v[148:149], s[36:37], v[84:85]
	v_mul_f64_e32 v[146:147], s[36:37], v[92:93]
	v_mul_f64_e32 v[150:151], s[50:51], v[90:91]
	v_mul_f64_e32 v[142:143], s[44:45], v[94:95]
	v_mul_f64_e32 v[186:187], s[48:49], v[12:13]
	v_mul_f64_e32 v[62:63], s[34:35], v[6:7]
	v_mul_f64_e32 v[14:15], s[14:15], v[4:5]
	v_mul_f64_e32 v[16:17], s[12:13], v[4:5]
	v_mul_f64_e32 v[26:27], s[34:35], v[4:5]
	v_mul_f64_e32 v[28:29], s[38:39], v[4:5]
	v_mul_f64_e32 v[188:189], s[54:55], v[12:13]
	v_mul_f64_e32 v[190:191], s[16:17], v[12:13]
	v_mul_f64_e32 v[144:145], s[44:45], v[86:87]
	v_mul_f64_e32 v[218:219], s[40:41], v[10:11]
	v_mul_f64_e32 v[220:221], s[48:49], v[10:11]
	v_mul_f64_e32 v[222:223], s[14:15], v[10:11]
	v_add_f64_e32 v[0:1], v[0:1], v[70:71]
	v_add_f64_e32 v[2:3], v[2:3], v[68:69]
	s_delay_alu instid0(VALU_DEP_2) | instskip(NEXT) | instid1(VALU_DEP_2)
	v_add_f64_e32 v[0:1], v[0:1], v[98:99]
	v_add_f64_e32 v[2:3], v[2:3], v[96:97]
	s_delay_alu instid0(VALU_DEP_2) | instskip(NEXT) | instid1(VALU_DEP_2)
	;; [unrolled: 3-line block ×3, first 2 shown]
	v_add_f64_e32 v[0:1], v[0:1], v[74:75]
	v_add_f64_e32 v[2:3], v[2:3], v[72:73]
	;; [unrolled: 1-line block ×4, first 2 shown]
	s_delay_alu instid0(VALU_DEP_4) | instskip(NEXT) | instid1(VALU_DEP_4)
	v_add_f64_e32 v[0:1], v[0:1], v[78:79]
	v_add_f64_e32 v[2:3], v[2:3], v[76:77]
	v_add_f64_e32 v[78:79], v[78:79], v[36:37]
	v_add_f64_e32 v[76:77], v[76:77], v[34:35]
	s_delay_alu instid0(VALU_DEP_4) | instskip(NEXT) | instid1(VALU_DEP_4)
	v_add_f64_e32 v[0:1], v[0:1], v[20:21]
	v_add_f64_e32 v[2:3], v[2:3], v[18:19]
	v_mul_f64_e32 v[18:19], s[16:17], v[4:5]
	v_add_f64_e64 v[20:21], v[64:65], -v[48:49]
	s_delay_alu instid0(VALU_DEP_4) | instskip(NEXT) | instid1(VALU_DEP_4)
	v_add_f64_e32 v[0:1], v[0:1], v[24:25]
	v_add_f64_e32 v[2:3], v[2:3], v[22:23]
	v_mul_f64_e32 v[22:23], s[36:37], v[4:5]
	v_mul_f64_e32 v[24:25], s[26:27], v[4:5]
	;; [unrolled: 1-line block ×6, first 2 shown]
	v_add_f64_e32 v[0:1], v[0:1], v[36:37]
	v_add_f64_e32 v[2:3], v[2:3], v[34:35]
	;; [unrolled: 1-line block ×3, first 2 shown]
	v_mul_f64_e32 v[60:61], s[26:27], v[6:7]
	v_add_f64_e64 v[34:35], v[66:67], -v[50:51]
	v_fma_f64 v[66:67], v[8:9], s[20:21], v[16:17]
	v_fma_f64 v[16:17], v[8:9], s[20:21], -v[16:17]
	v_fma_f64 v[108:109], v[8:9], s[0:1], -v[4:5]
	v_fma_f64 v[4:5], v[8:9], s[0:1], v[4:5]
	v_fma_f64 v[162:163], v[42:43], s[24:25], v[154:155]
	v_fma_f64 v[154:155], v[42:43], s[24:25], -v[154:155]
	v_fma_f64 v[164:165], v[42:43], s[22:23], -v[156:157]
	v_fma_f64 v[156:157], v[42:43], s[22:23], v[156:157]
	v_fma_f64 v[166:167], v[42:43], s[18:19], -v[158:159]
	v_fma_f64 v[158:159], v[42:43], s[18:19], v[158:159]
	v_add_f64_e32 v[0:1], v[0:1], v[32:33]
	v_add_f64_e32 v[2:3], v[2:3], v[30:31]
	v_add_f64_e64 v[30:31], v[98:99], -v[46:47]
	v_add_f64_e64 v[32:33], v[70:71], -v[58:59]
	v_fma_f64 v[118:119], v[36:37], s[18:19], -v[60:61]
	v_fma_f64 v[60:61], v[36:37], s[18:19], v[60:61]
	v_fma_f64 v[120:121], v[36:37], s[8:9], v[62:63]
	v_fma_f64 v[62:63], v[36:37], s[8:9], -v[62:63]
	v_add_f64_e32 v[66:67], v[140:141], v[66:67]
	v_add_f64_e32 v[16:17], v[140:141], v[16:17]
	;; [unrolled: 1-line block ×4, first 2 shown]
	v_mul_f64_e32 v[170:171], s[14:15], v[34:35]
	v_mul_f64_e32 v[172:173], s[16:17], v[34:35]
	;; [unrolled: 1-line block ×3, first 2 shown]
	v_add_f64_e32 v[0:1], v[0:1], v[40:41]
	v_add_f64_e32 v[2:3], v[2:3], v[38:39]
	;; [unrolled: 1-line block ×4, first 2 shown]
	v_fma_f64 v[70:71], v[8:9], s[30:31], v[22:23]
	v_fma_f64 v[22:23], v[8:9], s[30:31], -v[22:23]
	v_fma_f64 v[98:99], v[8:9], s[18:19], v[24:25]
	v_fma_f64 v[24:25], v[8:9], s[18:19], -v[24:25]
	v_add_f64_e32 v[134:135], v[138:139], v[60:61]
	v_mul_f64_e32 v[60:61], s[12:13], v[12:13]
	v_add_f64_e32 v[136:137], v[138:139], v[62:63]
	v_mul_f64_e32 v[62:63], s[12:13], v[32:33]
	v_add_f64_e32 v[118:119], v[138:139], v[118:119]
	v_add_f64_e32 v[120:121], v[138:139], v[120:121]
	v_mul_f64_e32 v[202:203], s[48:49], v[32:33]
	v_mul_f64_e32 v[204:205], s[54:55], v[32:33]
	;; [unrolled: 1-line block ×3, first 2 shown]
	v_add_f64_e32 v[0:1], v[0:1], v[46:47]
	v_add_f64_e32 v[2:3], v[2:3], v[44:45]
	v_add_f64_e32 v[46:47], v[68:69], v[56:57]
	v_add_f64_e32 v[44:45], v[96:97], v[44:45]
	v_add_f64_e32 v[96:97], v[64:65], v[48:49]
	v_fma_f64 v[64:65], v[8:9], s[24:25], v[14:15]
	v_fma_f64 v[14:15], v[8:9], s[24:25], -v[14:15]
	v_fma_f64 v[68:69], v[8:9], s[22:23], v[18:19]
	v_fma_f64 v[18:19], v[8:9], s[22:23], -v[18:19]
	v_add_f64_e32 v[130:131], v[140:141], v[70:71]
	v_mul_f64_e32 v[70:71], s[42:43], v[30:31]
	v_add_f64_e32 v[22:23], v[140:141], v[22:23]
	v_add_f64_e32 v[98:99], v[140:141], v[98:99]
	;; [unrolled: 1-line block ×3, first 2 shown]
	v_fma_f64 v[194:195], v[40:41], s[30:31], v[186:187]
	v_fma_f64 v[186:187], v[40:41], s[30:31], -v[186:187]
	v_fma_f64 v[196:197], v[40:41], s[24:25], -v[188:189]
	v_fma_f64 v[188:189], v[40:41], s[24:25], v[188:189]
	v_fma_f64 v[198:199], v[40:41], s[22:23], -v[190:191]
	v_fma_f64 v[190:191], v[40:41], s[22:23], v[190:191]
	v_fma_f64 v[226:227], v[38:39], s[0:1], v[218:219]
	v_fma_f64 v[218:219], v[38:39], s[0:1], -v[218:219]
	v_fma_f64 v[228:229], v[38:39], s[30:31], -v[220:221]
	v_fma_f64 v[220:221], v[38:39], s[30:31], v[220:221]
	v_fma_f64 v[230:231], v[38:39], s[24:25], -v[222:223]
	v_fma_f64 v[222:223], v[38:39], s[24:25], v[222:223]
	v_add_f64_e32 v[0:1], v[0:1], v[58:59]
	v_add_f64_e32 v[2:3], v[2:3], v[56:57]
	v_mul_f64_e32 v[56:57], s[16:17], v[6:7]
	v_mul_f64_e32 v[58:59], s[36:37], v[6:7]
	v_fma_f64 v[178:179], v[96:97], s[24:25], -v[170:171]
	v_fma_f64 v[170:171], v[96:97], s[24:25], v[170:171]
	v_add_f64_e32 v[14:15], v[140:141], v[14:15]
	v_add_f64_e32 v[68:69], v[140:141], v[68:69]
	;; [unrolled: 1-line block ×3, first 2 shown]
	v_fma_f64 v[180:181], v[96:97], s[22:23], v[172:173]
	v_fma_f64 v[172:173], v[96:97], s[22:23], -v[172:173]
	v_fma_f64 v[182:183], v[96:97], s[18:19], v[174:175]
	v_fma_f64 v[174:175], v[96:97], s[18:19], -v[174:175]
	v_fma_f64 v[210:211], v[46:47], s[30:31], -v[202:203]
	v_fma_f64 v[202:203], v[46:47], s[30:31], v[202:203]
	v_fma_f64 v[212:213], v[46:47], s[24:25], v[204:205]
	v_fma_f64 v[204:205], v[46:47], s[24:25], -v[204:205]
	v_fma_f64 v[214:215], v[46:47], s[22:23], v[206:207]
	v_fma_f64 v[206:207], v[46:47], s[22:23], -v[206:207]
	v_add_f64_e32 v[98:99], v[162:163], v[98:99]
	v_add_f64_e32 v[24:25], v[154:155], v[24:25]
	;; [unrolled: 1-line block ×4, first 2 shown]
	v_mul_f64_e32 v[48:49], s[14:15], v[6:7]
	v_fma_f64 v[114:115], v[36:37], s[22:23], -v[56:57]
	v_fma_f64 v[56:57], v[36:37], s[22:23], v[56:57]
	v_mul_f64_e32 v[50:51], s[12:13], v[6:7]
	v_fma_f64 v[116:117], v[36:37], s[30:31], -v[58:59]
	v_fma_f64 v[58:59], v[36:37], s[30:31], v[58:59]
	v_add_f64_e32 v[118:119], v[178:179], v[118:119]
	v_add_f64_e32 v[120:121], v[180:181], v[120:121]
	;; [unrolled: 1-line block ×5, first 2 shown]
	v_fma_f64 v[0:1], v[8:9], s[8:9], -v[26:27]
	v_fma_f64 v[2:3], v[8:9], s[2:3], -v[28:29]
	v_fma_f64 v[26:27], v[8:9], s[8:9], v[26:27]
	v_fma_f64 v[28:29], v[8:9], s[2:3], v[28:29]
	v_mul_f64_e32 v[8:9], s[38:39], v[6:7]
	v_mul_f64_e32 v[6:7], s[28:29], v[6:7]
	v_fma_f64 v[110:111], v[36:37], s[24:25], -v[48:49]
	v_fma_f64 v[48:49], v[36:37], s[24:25], v[48:49]
	v_add_f64_e32 v[128:129], v[138:139], v[56:57]
	v_mul_f64_e32 v[56:57], s[40:41], v[20:21]
	v_fma_f64 v[112:113], v[36:37], s[20:21], -v[50:51]
	v_fma_f64 v[50:51], v[36:37], s[20:21], v[50:51]
	v_add_f64_e32 v[132:133], v[138:139], v[58:59]
	v_mul_f64_e32 v[58:59], s[40:41], v[34:35]
	v_add_f64_e32 v[114:115], v[138:139], v[114:115]
	v_add_f64_e32 v[116:117], v[138:139], v[116:117]
	;; [unrolled: 1-line block ×7, first 2 shown]
	v_fma_f64 v[122:123], v[36:37], s[2:3], v[8:9]
	v_fma_f64 v[8:9], v[36:37], s[2:3], -v[8:9]
	v_fma_f64 v[124:125], v[36:37], s[0:1], v[6:7]
	v_fma_f64 v[6:7], v[36:37], s[0:1], -v[6:7]
	v_add_f64_e32 v[36:37], v[140:141], v[64:65]
	v_add_f64_e32 v[64:65], v[138:139], v[110:111]
	;; [unrolled: 1-line block ×3, first 2 shown]
	v_fma_f64 v[48:49], v[42:43], s[0:1], v[56:57]
	v_add_f64_e32 v[126:127], v[138:139], v[50:51]
	v_fma_f64 v[50:51], v[40:41], s[20:21], v[60:61]
	v_fma_f64 v[56:57], v[42:43], s[0:1], -v[56:57]
	v_add_f64_e32 v[112:113], v[138:139], v[112:113]
	v_mul_f64_e32 v[140:141], s[16:17], v[102:103]
	v_add_f64_e32 v[0:1], v[164:165], v[0:1]
	v_add_f64_e32 v[2:3], v[166:167], v[2:3]
	;; [unrolled: 1-line block ×8, first 2 shown]
	v_mul_f64_e32 v[138:139], s[16:17], v[104:105]
	v_add_f64_e32 v[36:37], v[48:49], v[36:37]
	v_fma_f64 v[48:49], v[96:97], s[0:1], -v[58:59]
	v_add_f64_e32 v[14:15], v[56:57], v[14:15]
	v_fma_f64 v[56:57], v[96:97], s[0:1], v[58:59]
	v_fma_f64 v[58:59], v[40:41], s[20:21], -v[60:61]
	v_add_f64_e32 v[0:1], v[196:197], v[0:1]
	v_add_f64_e32 v[2:3], v[198:199], v[2:3]
	;; [unrolled: 1-line block ×7, first 2 shown]
	v_fma_f64 v[50:51], v[46:47], s[20:21], -v[62:63]
	v_mul_f64_e32 v[64:65], s[42:43], v[10:11]
	v_add_f64_e32 v[56:57], v[56:57], v[110:111]
	v_add_f64_e32 v[14:15], v[58:59], v[14:15]
	v_fma_f64 v[58:59], v[46:47], s[20:21], v[62:63]
	v_mul_f64_e32 v[110:111], s[46:47], v[10:11]
	v_add_f64_e32 v[0:1], v[228:229], v[0:1]
	v_add_f64_e32 v[2:3], v[230:231], v[2:3]
	;; [unrolled: 1-line block ×6, first 2 shown]
	v_fma_f64 v[50:51], v[38:39], s[2:3], v[64:65]
	v_add_f64_e32 v[56:57], v[58:59], v[56:57]
	v_fma_f64 v[58:59], v[38:39], s[2:3], -v[64:65]
	v_mul_f64_e32 v[64:65], s[44:45], v[34:35]
	s_delay_alu instid0(VALU_DEP_4) | instskip(SKIP_1) | instid1(VALU_DEP_4)
	v_add_f64_e32 v[36:37], v[50:51], v[36:37]
	v_fma_f64 v[50:51], v[44:45], s[2:3], -v[70:71]
	v_add_f64_e32 v[14:15], v[58:59], v[14:15]
	v_fma_f64 v[58:59], v[44:45], s[2:3], v[70:71]
	v_fma_f64 v[60:61], v[96:97], s[8:9], -v[64:65]
	v_mul_f64_e32 v[70:71], s[26:27], v[32:33]
	v_add_f64_e32 v[48:49], v[50:51], v[48:49]
	v_fma_f64 v[50:51], v[106:107], s[22:23], v[138:139]
	v_add_f64_e32 v[56:57], v[58:59], v[56:57]
	v_fma_f64 v[58:59], v[106:107], s[22:23], -v[138:139]
	v_add_f64_e32 v[60:61], v[60:61], v[112:113]
	v_mul_f64_e32 v[112:113], s[46:47], v[30:31]
	v_mul_f64_e32 v[138:139], s[28:29], v[104:105]
	v_add_f64_e32 v[36:37], v[50:51], v[36:37]
	v_fma_f64 v[50:51], v[100:101], s[22:23], -v[140:141]
	v_add_f64_e32 v[14:15], v[58:59], v[14:15]
	v_fma_f64 v[58:59], v[100:101], s[22:23], v[140:141]
	v_mul_f64_e32 v[140:141], s[28:29], v[102:103]
	s_delay_alu instid0(VALU_DEP_4) | instskip(SKIP_1) | instid1(VALU_DEP_4)
	v_add_f64_e32 v[48:49], v[50:51], v[48:49]
	v_fma_f64 v[50:51], v[74:75], s[8:9], v[142:143]
	v_add_f64_e32 v[56:57], v[58:59], v[56:57]
	v_fma_f64 v[58:59], v[74:75], s[8:9], -v[142:143]
	v_mul_f64_e32 v[142:143], s[14:15], v[94:95]
	s_delay_alu instid0(VALU_DEP_4) | instskip(SKIP_1) | instid1(VALU_DEP_4)
	v_add_f64_e32 v[36:37], v[50:51], v[36:37]
	v_fma_f64 v[50:51], v[72:73], s[8:9], -v[144:145]
	v_add_f64_e32 v[14:15], v[58:59], v[14:15]
	v_fma_f64 v[58:59], v[72:73], s[8:9], v[144:145]
	v_mul_f64_e32 v[144:145], s[14:15], v[86:87]
	s_delay_alu instid0(VALU_DEP_4) | instskip(SKIP_1) | instid1(VALU_DEP_4)
	v_add_f64_e32 v[48:49], v[50:51], v[48:49]
	v_fma_f64 v[50:51], v[78:79], s[30:31], v[146:147]
	v_add_f64_e32 v[56:57], v[58:59], v[56:57]
	v_fma_f64 v[58:59], v[78:79], s[30:31], -v[146:147]
	v_mul_f64_e32 v[146:147], s[42:43], v[92:93]
	s_delay_alu instid0(VALU_DEP_4) | instskip(SKIP_1) | instid1(VALU_DEP_4)
	;; [unrolled: 12-line block ×3, first 2 shown]
	v_add_f64_e32 v[50:51], v[50:51], v[36:37]
	v_mul_f64_e32 v[36:37], s[50:51], v[88:89]
	v_add_f64_e32 v[58:59], v[58:59], v[14:15]
	v_mul_f64_e32 v[14:15], s[44:45], v[20:21]
	s_delay_alu instid0(VALU_DEP_3) | instskip(SKIP_1) | instid1(VALU_DEP_2)
	v_fma_f64 v[152:153], v[80:81], s[18:19], -v[36:37]
	v_fma_f64 v[36:37], v[80:81], s[18:19], v[36:37]
	v_add_f64_e32 v[48:49], v[152:153], v[48:49]
	s_delay_alu instid0(VALU_DEP_2) | instskip(SKIP_2) | instid1(VALU_DEP_2)
	v_add_f64_e32 v[56:57], v[36:37], v[56:57]
	v_fma_f64 v[36:37], v[42:43], s[8:9], v[14:15]
	v_fma_f64 v[14:15], v[42:43], s[8:9], -v[14:15]
	v_add_f64_e32 v[36:37], v[36:37], v[66:67]
	v_mul_f64_e32 v[66:67], s[26:27], v[12:13]
	s_delay_alu instid0(VALU_DEP_3) | instskip(SKIP_1) | instid1(VALU_DEP_3)
	v_add_f64_e32 v[14:15], v[14:15], v[16:17]
	v_fma_f64 v[16:17], v[96:97], s[8:9], v[64:65]
	v_fma_f64 v[62:63], v[40:41], s[18:19], v[66:67]
	v_fma_f64 v[64:65], v[40:41], s[18:19], -v[66:67]
	s_delay_alu instid0(VALU_DEP_3) | instskip(SKIP_1) | instid1(VALU_DEP_4)
	v_add_f64_e32 v[16:17], v[16:17], v[126:127]
	v_mul_f64_e32 v[126:127], s[12:13], v[30:31]
	v_add_f64_e32 v[36:37], v[62:63], v[36:37]
	v_fma_f64 v[62:63], v[46:47], s[18:19], -v[70:71]
	v_add_f64_e32 v[14:15], v[64:65], v[14:15]
	v_fma_f64 v[64:65], v[46:47], s[18:19], v[70:71]
	s_delay_alu instid0(VALU_DEP_3) | instskip(SKIP_1) | instid1(VALU_DEP_3)
	v_add_f64_e32 v[60:61], v[62:63], v[60:61]
	v_fma_f64 v[62:63], v[38:39], s[22:23], v[110:111]
	v_add_f64_e32 v[16:17], v[64:65], v[16:17]
	v_fma_f64 v[64:65], v[38:39], s[22:23], -v[110:111]
	v_mul_f64_e32 v[110:111], s[28:29], v[12:13]
	s_delay_alu instid0(VALU_DEP_4) | instskip(SKIP_1) | instid1(VALU_DEP_4)
	v_add_f64_e32 v[36:37], v[62:63], v[36:37]
	v_fma_f64 v[62:63], v[44:45], s[22:23], -v[112:113]
	v_add_f64_e32 v[14:15], v[64:65], v[14:15]
	v_fma_f64 v[64:65], v[44:45], s[22:23], v[112:113]
	v_fma_f64 v[70:71], v[40:41], s[0:1], v[110:111]
	v_mul_f64_e32 v[112:113], s[28:29], v[32:33]
	v_fma_f64 v[110:111], v[40:41], s[0:1], -v[110:111]
	v_add_f64_e32 v[60:61], v[62:63], v[60:61]
	v_fma_f64 v[62:63], v[106:107], s[0:1], v[138:139]
	v_add_f64_e32 v[16:17], v[64:65], v[16:17]
	v_fma_f64 v[64:65], v[106:107], s[0:1], -v[138:139]
	v_mul_f64_e32 v[138:139], s[50:51], v[104:105]
	s_delay_alu instid0(VALU_DEP_4) | instskip(SKIP_1) | instid1(VALU_DEP_4)
	v_add_f64_e32 v[36:37], v[62:63], v[36:37]
	v_fma_f64 v[62:63], v[100:101], s[0:1], -v[140:141]
	v_add_f64_e32 v[14:15], v[64:65], v[14:15]
	v_fma_f64 v[64:65], v[100:101], s[0:1], v[140:141]
	v_mul_f64_e32 v[140:141], s[50:51], v[102:103]
	s_delay_alu instid0(VALU_DEP_4) | instskip(SKIP_1) | instid1(VALU_DEP_4)
	v_add_f64_e32 v[60:61], v[62:63], v[60:61]
	v_fma_f64 v[62:63], v[74:75], s[24:25], v[142:143]
	v_add_f64_e32 v[16:17], v[64:65], v[16:17]
	v_fma_f64 v[64:65], v[74:75], s[24:25], -v[142:143]
	v_mul_f64_e32 v[142:143], s[38:39], v[94:95]
	s_delay_alu instid0(VALU_DEP_4) | instskip(SKIP_1) | instid1(VALU_DEP_4)
	v_add_f64_e32 v[36:37], v[62:63], v[36:37]
	v_fma_f64 v[62:63], v[72:73], s[24:25], -v[144:145]
	v_add_f64_e32 v[14:15], v[64:65], v[14:15]
	v_fma_f64 v[64:65], v[72:73], s[24:25], v[144:145]
	v_mul_f64_e32 v[144:145], s[38:39], v[86:87]
	s_delay_alu instid0(VALU_DEP_4) | instskip(SKIP_1) | instid1(VALU_DEP_4)
	;; [unrolled: 12-line block ×3, first 2 shown]
	v_add_f64_e32 v[60:61], v[62:63], v[60:61]
	v_fma_f64 v[62:63], v[82:83], s[30:31], v[150:151]
	v_add_f64_e32 v[16:17], v[64:65], v[16:17]
	v_fma_f64 v[64:65], v[82:83], s[30:31], -v[150:151]
	v_mul_f64_e32 v[150:151], s[44:45], v[90:91]
	s_delay_alu instid0(VALU_DEP_4) | instskip(SKIP_1) | instid1(VALU_DEP_4)
	v_add_f64_e32 v[62:63], v[62:63], v[36:37]
	v_mul_f64_e32 v[36:37], s[36:37], v[88:89]
	v_add_f64_e32 v[66:67], v[64:65], v[14:15]
	v_mul_f64_e32 v[14:15], s[48:49], v[20:21]
	s_delay_alu instid0(VALU_DEP_3) | instskip(SKIP_1) | instid1(VALU_DEP_2)
	v_fma_f64 v[152:153], v[80:81], s[30:31], -v[36:37]
	v_fma_f64 v[36:37], v[80:81], s[30:31], v[36:37]
	v_add_f64_e32 v[60:61], v[152:153], v[60:61]
	s_delay_alu instid0(VALU_DEP_2) | instskip(SKIP_3) | instid1(VALU_DEP_3)
	v_add_f64_e32 v[64:65], v[36:37], v[16:17]
	v_fma_f64 v[16:17], v[42:43], s[30:31], v[14:15]
	v_mul_f64_e32 v[36:37], s[48:49], v[34:35]
	v_fma_f64 v[14:15], v[42:43], s[30:31], -v[14:15]
	v_add_f64_e32 v[16:17], v[16:17], v[68:69]
	s_delay_alu instid0(VALU_DEP_3) | instskip(SKIP_1) | instid1(VALU_DEP_4)
	v_fma_f64 v[68:69], v[96:97], s[30:31], -v[36:37]
	v_fma_f64 v[36:37], v[96:97], s[30:31], v[36:37]
	v_add_f64_e32 v[14:15], v[14:15], v[18:19]
	s_delay_alu instid0(VALU_DEP_4) | instskip(NEXT) | instid1(VALU_DEP_4)
	v_add_f64_e32 v[16:17], v[70:71], v[16:17]
	v_add_f64_e32 v[68:69], v[68:69], v[114:115]
	v_fma_f64 v[70:71], v[46:47], s[0:1], -v[112:113]
	v_mul_f64_e32 v[114:115], s[12:13], v[10:11]
	v_fma_f64 v[112:113], v[46:47], s[0:1], v[112:113]
	v_add_f64_e32 v[18:19], v[36:37], v[128:129]
	v_mul_f64_e32 v[128:129], s[40:41], v[30:31]
	v_add_f64_e32 v[14:15], v[110:111], v[14:15]
	v_mul_f64_e32 v[110:111], s[42:43], v[104:105]
	v_add_f64_e32 v[68:69], v[70:71], v[68:69]
	v_fma_f64 v[70:71], v[38:39], s[20:21], v[114:115]
	v_fma_f64 v[114:115], v[38:39], s[20:21], -v[114:115]
	v_add_f64_e32 v[18:19], v[112:113], v[18:19]
	v_fma_f64 v[154:155], v[44:45], s[0:1], -v[128:129]
	v_fma_f64 v[128:129], v[44:45], s[0:1], v[128:129]
	v_mul_f64_e32 v[112:113], s[52:53], v[104:105]
	v_add_f64_e32 v[16:17], v[70:71], v[16:17]
	v_fma_f64 v[70:71], v[44:45], s[20:21], -v[126:127]
	v_fma_f64 v[126:127], v[44:45], s[20:21], v[126:127]
	v_add_f64_e32 v[14:15], v[114:115], v[14:15]
	v_mul_f64_e32 v[114:115], s[52:53], v[102:103]
	v_fma_f64 v[156:157], v[106:107], s[20:21], -v[112:113]
	v_fma_f64 v[112:113], v[106:107], s[20:21], v[112:113]
	v_add_f64_e32 v[68:69], v[70:71], v[68:69]
	v_fma_f64 v[70:71], v[106:107], s[18:19], v[138:139]
	v_add_f64_e32 v[18:19], v[126:127], v[18:19]
	v_add_f64_e32 v[2:3], v[156:157], v[2:3]
	v_add_f64_e32 v[28:29], v[112:113], v[28:29]
	s_delay_alu instid0(VALU_DEP_4) | instskip(SKIP_1) | instid1(VALU_DEP_1)
	v_add_f64_e32 v[16:17], v[70:71], v[16:17]
	v_fma_f64 v[70:71], v[100:101], s[18:19], -v[140:141]
	v_add_f64_e32 v[68:69], v[70:71], v[68:69]
	v_fma_f64 v[70:71], v[74:75], s[2:3], v[142:143]
	s_delay_alu instid0(VALU_DEP_1) | instskip(SKIP_1) | instid1(VALU_DEP_1)
	v_add_f64_e32 v[16:17], v[70:71], v[16:17]
	v_fma_f64 v[70:71], v[72:73], s[2:3], -v[144:145]
	v_add_f64_e32 v[68:69], v[70:71], v[68:69]
	v_fma_f64 v[70:71], v[78:79], s[24:25], v[146:147]
	s_delay_alu instid0(VALU_DEP_1) | instskip(SKIP_1) | instid1(VALU_DEP_1)
	;; [unrolled: 5-line block ×3, first 2 shown]
	v_add_f64_e32 v[70:71], v[70:71], v[16:17]
	v_mul_f64_e32 v[16:17], s[44:45], v[88:89]
	v_fma_f64 v[152:153], v[80:81], s[8:9], -v[16:17]
	v_fma_f64 v[16:17], v[80:81], s[8:9], v[16:17]
	s_delay_alu instid0(VALU_DEP_2) | instskip(SKIP_2) | instid1(VALU_DEP_2)
	v_add_f64_e32 v[68:69], v[152:153], v[68:69]
	v_mul_f64_e32 v[152:153], s[52:53], v[20:21]
	v_mul_f64_e32 v[20:21], s[38:39], v[20:21]
	v_fma_f64 v[160:161], v[42:43], s[20:21], v[152:153]
	v_fma_f64 v[152:153], v[42:43], s[20:21], -v[152:153]
	s_delay_alu instid0(VALU_DEP_3)
	v_fma_f64 v[168:169], v[42:43], s[2:3], -v[20:21]
	v_fma_f64 v[20:21], v[42:43], s[2:3], v[20:21]
	v_mul_f64_e32 v[42:43], s[52:53], v[34:35]
	v_mul_f64_e32 v[34:35], s[38:39], v[34:35]
	v_add_f64_e32 v[36:37], v[160:161], v[130:131]
	v_mul_f64_e32 v[130:131], s[48:49], v[30:31]
	v_add_f64_e32 v[22:23], v[152:153], v[22:23]
	v_add_f64_e32 v[4:5], v[20:21], v[4:5]
	v_fma_f64 v[176:177], v[96:97], s[20:21], -v[42:43]
	v_fma_f64 v[42:43], v[96:97], s[20:21], v[42:43]
	v_fma_f64 v[184:185], v[96:97], s[2:3], v[34:35]
	v_fma_f64 v[34:35], v[96:97], s[2:3], -v[34:35]
	v_mul_f64_e32 v[96:97], s[42:43], v[12:13]
	v_mul_f64_e32 v[12:13], s[34:35], v[12:13]
	v_fma_f64 v[160:161], v[44:45], s[30:31], v[130:131]
	v_fma_f64 v[130:131], v[44:45], s[30:31], -v[130:131]
	v_add_f64_e32 v[116:117], v[176:177], v[116:117]
	v_add_f64_e32 v[42:43], v[42:43], v[132:133]
	v_mul_f64_e32 v[132:133], s[14:15], v[30:31]
	v_add_f64_e32 v[6:7], v[34:35], v[6:7]
	v_fma_f64 v[192:193], v[40:41], s[2:3], v[96:97]
	v_fma_f64 v[96:97], v[40:41], s[2:3], -v[96:97]
	v_fma_f64 v[200:201], v[40:41], s[8:9], -v[12:13]
	v_fma_f64 v[12:13], v[40:41], s[8:9], v[12:13]
	v_mul_f64_e32 v[40:41], s[42:43], v[32:33]
	v_mul_f64_e32 v[32:33], s[34:35], v[32:33]
	v_fma_f64 v[162:163], v[44:45], s[24:25], v[132:133]
	v_fma_f64 v[132:133], v[44:45], s[24:25], -v[132:133]
	v_add_f64_e32 v[36:37], v[192:193], v[36:37]
	v_add_f64_e32 v[22:23], v[96:97], v[22:23]
	;; [unrolled: 1-line block ×4, first 2 shown]
	v_fma_f64 v[208:209], v[46:47], s[2:3], -v[40:41]
	v_fma_f64 v[40:41], v[46:47], s[2:3], v[40:41]
	v_fma_f64 v[216:217], v[46:47], s[8:9], v[32:33]
	v_fma_f64 v[32:33], v[46:47], s[8:9], -v[32:33]
	v_mul_f64_e32 v[46:47], s[34:35], v[10:11]
	v_mul_f64_e32 v[10:11], s[26:27], v[10:11]
	v_add_f64_e32 v[8:9], v[132:133], v[8:9]
	v_add_f64_e32 v[40:41], v[40:41], v[42:43]
	;; [unrolled: 1-line block ×3, first 2 shown]
	v_mul_f64_e32 v[98:99], s[14:15], v[104:105]
	v_fma_f64 v[224:225], v[38:39], s[8:9], v[46:47]
	v_fma_f64 v[46:47], v[38:39], s[8:9], -v[46:47]
	v_fma_f64 v[232:233], v[38:39], s[18:19], -v[10:11]
	v_fma_f64 v[10:11], v[38:39], s[18:19], v[10:11]
	v_add_f64_e32 v[38:39], v[168:169], v[108:109]
	v_add_f64_e32 v[108:109], v[184:185], v[124:125]
	v_mul_f64_e32 v[124:125], s[34:35], v[30:31]
	v_mul_f64_e32 v[30:31], s[26:27], v[30:31]
	v_add_f64_e32 v[6:7], v[32:33], v[6:7]
	v_fma_f64 v[118:119], v[106:107], s[24:25], v[98:99]
	v_add_f64_e32 v[32:33], v[224:225], v[36:37]
	v_add_f64_e32 v[22:23], v[46:47], v[22:23]
	v_mul_f64_e32 v[46:47], s[34:35], v[102:103]
	v_fma_f64 v[98:99], v[106:107], s[24:25], -v[98:99]
	v_add_f64_e32 v[20:21], v[200:201], v[38:39]
	v_add_f64_e32 v[34:35], v[216:217], v[108:109]
	v_fma_f64 v[152:153], v[44:45], s[8:9], -v[124:125]
	v_fma_f64 v[164:165], v[44:45], s[18:19], v[30:31]
	v_add_f64_e32 v[38:39], v[208:209], v[116:117]
	v_fma_f64 v[124:125], v[44:45], s[8:9], v[124:125]
	v_mul_f64_e32 v[108:109], s[34:35], v[104:105]
	v_fma_f64 v[30:31], v[44:45], s[18:19], -v[30:31]
	v_add_f64_e32 v[44:45], v[182:183], v[122:123]
	v_add_f64_e32 v[122:123], v[170:171], v[134:135]
	;; [unrolled: 1-line block ×3, first 2 shown]
	v_mul_f64_e32 v[104:105], s[36:37], v[104:105]
	v_fma_f64 v[116:117], v[106:107], s[18:19], -v[138:139]
	v_fma_f64 v[138:139], v[106:107], s[2:3], -v[110:111]
	v_fma_f64 v[110:111], v[106:107], s[2:3], v[110:111]
	v_add_f64_e32 v[4:5], v[10:11], v[4:5]
	v_add_f64_e32 v[22:23], v[98:99], v[22:23]
	v_add_f64_e32 v[12:13], v[232:233], v[20:21]
	v_add_f64_e32 v[20:21], v[164:165], v[34:35]
	v_add_f64_e32 v[34:35], v[152:153], v[38:39]
	v_add_f64_e32 v[38:39], v[226:227], v[42:43]
	v_mul_f64_e32 v[42:43], s[14:15], v[102:103]
	v_fma_f64 v[136:137], v[106:107], s[8:9], v[108:109]
	v_add_f64_e32 v[36:37], v[124:125], v[40:41]
	v_add_f64_e32 v[40:41], v[154:155], v[96:97]
	v_mul_f64_e32 v[96:97], s[42:43], v[102:103]
	v_mul_f64_e32 v[102:103], s[36:37], v[102:103]
	v_fma_f64 v[108:109], v[106:107], s[8:9], -v[108:109]
	v_fma_f64 v[158:159], v[106:107], s[30:31], -v[104:105]
	v_fma_f64 v[104:105], v[106:107], s[30:31], v[104:105]
	v_add_f64_e32 v[106:107], v[212:213], v[120:121]
	v_add_f64_e32 v[120:121], v[202:203], v[122:123]
	;; [unrolled: 1-line block ×3, first 2 shown]
	v_fma_f64 v[134:135], v[100:101], s[8:9], -v[46:47]
	v_add_f64_e32 v[6:7], v[30:31], v[6:7]
	v_fma_f64 v[124:125], v[100:101], s[18:19], v[140:141]
	v_add_f64_e32 v[14:15], v[116:117], v[14:15]
	v_fma_f64 v[46:47], v[100:101], s[8:9], v[46:47]
	v_fma_f64 v[152:153], v[100:101], s[20:21], v[114:115]
	v_fma_f64 v[114:115], v[100:101], s[20:21], -v[114:115]
	v_add_f64_e32 v[44:45], v[214:215], v[44:45]
	v_add_f64_e32 v[26:27], v[110:111], v[26:27]
	;; [unrolled: 1-line block ×3, first 2 shown]
	v_fma_f64 v[126:127], v[100:101], s[24:25], -v[42:43]
	v_fma_f64 v[42:43], v[100:101], s[24:25], v[42:43]
	v_fma_f64 v[140:141], v[100:101], s[2:3], v[96:97]
	;; [unrolled: 1-line block ×3, first 2 shown]
	v_add_f64_e32 v[24:25], v[108:109], v[24:25]
	v_add_f64_e32 v[10:11], v[158:159], v[12:13]
	v_fma_f64 v[96:97], v[100:101], s[2:3], -v[96:97]
	v_fma_f64 v[100:101], v[100:101], s[30:31], -v[102:103]
	v_add_f64_e32 v[102:103], v[160:161], v[106:107]
	v_add_f64_e32 v[106:107], v[128:129], v[120:121]
	;; [unrolled: 1-line block ×5, first 2 shown]
	v_mul_f64_e32 v[104:105], s[28:29], v[86:87]
	v_add_f64_e32 v[8:9], v[114:115], v[8:9]
	v_add_f64_e32 v[44:45], v[162:163], v[44:45]
	v_add_f64_e32 v[30:31], v[126:127], v[34:35]
	v_add_f64_e32 v[34:35], v[136:137], v[38:39]
	v_mul_f64_e32 v[38:39], s[16:17], v[94:95]
	v_add_f64_e32 v[12:13], v[154:155], v[20:21]
	v_add_f64_e32 v[20:21], v[118:119], v[32:33]
	;; [unrolled: 1-line block ×7, first 2 shown]
	v_mul_f64_e32 v[106:107], s[28:29], v[94:95]
	v_add_f64_e32 v[96:97], v[96:97], v[120:121]
	v_mul_f64_e32 v[100:101], s[26:27], v[92:93]
	v_fma_f64 v[120:121], v[72:73], s[0:1], v[104:105]
	v_fma_f64 v[104:105], v[72:73], s[0:1], -v[104:105]
	v_add_f64_e32 v[44:45], v[152:153], v[44:45]
	v_fma_f64 v[40:41], v[74:75], s[22:23], -v[38:39]
	v_fma_f64 v[38:39], v[74:75], s[22:23], v[38:39]
	v_fma_f64 v[110:111], v[74:75], s[0:1], -v[106:107]
	v_fma_f64 v[106:107], v[74:75], s[0:1], v[106:107]
	v_add_f64_e32 v[96:97], v[104:105], v[96:97]
	v_fma_f64 v[104:105], v[78:79], s[18:19], -v[100:101]
	v_fma_f64 v[100:101], v[78:79], s[18:19], v[100:101]
	v_add_f64_e32 v[10:11], v[40:41], v[10:11]
	v_mul_f64_e32 v[40:41], s[16:17], v[86:87]
	v_add_f64_e32 v[4:5], v[38:39], v[4:5]
	v_add_f64_e32 v[0:1], v[110:111], v[0:1]
	;; [unrolled: 1-line block ×3, first 2 shown]
	s_delay_alu instid0(VALU_DEP_4) | instskip(SKIP_1) | instid1(VALU_DEP_4)
	v_fma_f64 v[42:43], v[72:73], s[22:23], v[40:41]
	v_fma_f64 v[40:41], v[72:73], s[22:23], -v[40:41]
	v_add_f64_e32 v[0:1], v[104:105], v[0:1]
	v_mul_f64_e32 v[104:105], s[12:13], v[88:89]
	v_add_f64_e32 v[26:27], v[100:101], v[26:27]
	v_add_f64_e32 v[12:13], v[42:43], v[12:13]
	v_fma_f64 v[42:43], v[74:75], s[2:3], -v[142:143]
	v_add_f64_e32 v[6:7], v[40:41], v[6:7]
	v_mul_f64_e32 v[40:41], s[14:15], v[90:91]
	v_fma_f64 v[124:125], v[80:81], s[20:21], -v[104:105]
	s_delay_alu instid0(VALU_DEP_4) | instskip(SKIP_1) | instid1(VALU_DEP_1)
	v_add_f64_e32 v[14:15], v[42:43], v[14:15]
	v_fma_f64 v[42:43], v[72:73], s[2:3], v[144:145]
	v_add_f64_e32 v[18:19], v[42:43], v[18:19]
	v_mul_f64_e32 v[42:43], s[50:51], v[94:95]
	s_delay_alu instid0(VALU_DEP_1) | instskip(SKIP_1) | instid1(VALU_DEP_2)
	v_fma_f64 v[98:99], v[74:75], s[18:19], v[42:43]
	v_fma_f64 v[42:43], v[74:75], s[18:19], -v[42:43]
	v_add_f64_e32 v[20:21], v[98:99], v[20:21]
	v_mul_f64_e32 v[98:99], s[50:51], v[86:87]
	s_delay_alu instid0(VALU_DEP_3) | instskip(NEXT) | instid1(VALU_DEP_2)
	v_add_f64_e32 v[22:23], v[42:43], v[22:23]
	v_fma_f64 v[42:43], v[72:73], s[18:19], v[98:99]
	v_fma_f64 v[108:109], v[72:73], s[18:19], -v[98:99]
	s_delay_alu instid0(VALU_DEP_2) | instskip(SKIP_1) | instid1(VALU_DEP_3)
	v_add_f64_e32 v[32:33], v[42:43], v[32:33]
	v_mul_f64_e32 v[42:43], s[12:13], v[94:95]
	v_add_f64_e32 v[30:31], v[108:109], v[30:31]
	v_mul_f64_e32 v[94:95], s[48:49], v[94:95]
	s_delay_alu instid0(VALU_DEP_3) | instskip(SKIP_1) | instid1(VALU_DEP_3)
	v_fma_f64 v[98:99], v[74:75], s[20:21], v[42:43]
	v_fma_f64 v[42:43], v[74:75], s[20:21], -v[42:43]
	v_fma_f64 v[112:113], v[74:75], s[30:31], -v[94:95]
	v_fma_f64 v[94:95], v[74:75], s[30:31], v[94:95]
	v_mul_f64_e32 v[74:75], s[12:13], v[86:87]
	v_mul_f64_e32 v[86:87], s[48:49], v[86:87]
	v_add_f64_e32 v[34:35], v[98:99], v[34:35]
	v_mul_f64_e32 v[98:99], s[12:13], v[92:93]
	v_add_f64_e32 v[24:25], v[42:43], v[24:25]
	v_add_f64_e32 v[28:29], v[94:95], v[28:29]
	v_fma_f64 v[114:115], v[72:73], s[20:21], -v[74:75]
	v_fma_f64 v[74:75], v[72:73], s[20:21], v[74:75]
	v_add_f64_e32 v[2:3], v[112:113], v[2:3]
	v_fma_f64 v[108:109], v[78:79], s[20:21], -v[98:99]
	s_delay_alu instid0(VALU_DEP_4) | instskip(NEXT) | instid1(VALU_DEP_4)
	v_add_f64_e32 v[36:37], v[114:115], v[36:37]
	v_add_f64_e32 v[46:47], v[74:75], v[46:47]
	v_mul_f64_e32 v[74:75], s[46:47], v[84:85]
	s_delay_alu instid0(VALU_DEP_4) | instskip(SKIP_1) | instid1(VALU_DEP_3)
	v_add_f64_e32 v[10:11], v[108:109], v[10:11]
	v_mul_f64_e32 v[108:109], s[12:13], v[84:85]
	v_fma_f64 v[38:39], v[76:77], s[22:23], v[74:75]
	s_delay_alu instid0(VALU_DEP_2) | instskip(NEXT) | instid1(VALU_DEP_2)
	v_fma_f64 v[116:117], v[76:77], s[20:21], v[108:109]
	v_add_f64_e32 v[38:39], v[38:39], v[46:47]
	v_fma_f64 v[46:47], v[82:83], s[8:9], -v[150:151]
	s_delay_alu instid0(VALU_DEP_3) | instskip(SKIP_1) | instid1(VALU_DEP_1)
	v_add_f64_e32 v[12:13], v[116:117], v[12:13]
	v_fma_f64 v[116:117], v[78:79], s[24:25], -v[146:147]
	v_add_f64_e32 v[14:15], v[116:117], v[14:15]
	v_fma_f64 v[116:117], v[76:77], s[24:25], v[148:149]
	s_delay_alu instid0(VALU_DEP_1) | instskip(SKIP_1) | instid1(VALU_DEP_1)
	v_add_f64_e32 v[18:19], v[116:117], v[18:19]
	v_mul_f64_e32 v[116:117], s[28:29], v[92:93]
	v_fma_f64 v[118:119], v[78:79], s[0:1], v[116:117]
	v_fma_f64 v[106:107], v[78:79], s[0:1], -v[116:117]
	s_delay_alu instid0(VALU_DEP_2) | instskip(SKIP_1) | instid1(VALU_DEP_3)
	v_add_f64_e32 v[20:21], v[118:119], v[20:21]
	v_mul_f64_e32 v[118:119], s[28:29], v[84:85]
	v_add_f64_e32 v[22:23], v[106:107], v[22:23]
	v_mul_f64_e32 v[106:107], s[16:17], v[90:91]
	s_delay_alu instid0(VALU_DEP_3) | instskip(SKIP_1) | instid1(VALU_DEP_3)
	v_fma_f64 v[122:123], v[76:77], s[0:1], -v[118:119]
	v_fma_f64 v[94:95], v[76:77], s[0:1], v[118:119]
	v_fma_f64 v[100:101], v[82:83], s[22:23], v[106:107]
	v_fma_f64 v[106:107], v[82:83], s[22:23], -v[106:107]
	s_delay_alu instid0(VALU_DEP_4)
	v_add_f64_e32 v[30:31], v[122:123], v[30:31]
	v_fma_f64 v[122:123], v[72:73], s[30:31], v[86:87]
	v_fma_f64 v[86:87], v[72:73], s[30:31], -v[86:87]
	v_add_f64_e32 v[72:73], v[120:121], v[102:103]
	v_mul_f64_e32 v[102:103], s[26:27], v[84:85]
	v_mul_f64_e32 v[84:85], s[44:45], v[84:85]
	v_add_f64_e32 v[32:33], v[94:95], v[32:33]
	v_mul_f64_e32 v[94:95], s[42:43], v[90:91]
	v_add_f64_e32 v[42:43], v[122:123], v[44:45]
	v_mul_f64_e32 v[44:45], s[46:47], v[92:93]
	v_mul_f64_e32 v[92:93], s[44:45], v[92:93]
	v_add_f64_e32 v[8:9], v[86:87], v[8:9]
	v_fma_f64 v[112:113], v[76:77], s[8:9], v[84:85]
	v_fma_f64 v[84:85], v[76:77], s[8:9], -v[84:85]
	v_fma_f64 v[114:115], v[82:83], s[2:3], v[94:95]
	v_fma_f64 v[94:95], v[82:83], s[2:3], -v[94:95]
	;; [unrolled: 2-line block ×4, first 2 shown]
	v_add_f64_e32 v[8:9], v[84:85], v[8:9]
	v_fma_f64 v[78:79], v[78:79], s[20:21], v[98:99]
	v_fma_f64 v[98:99], v[76:77], s[22:23], -v[74:75]
	v_fma_f64 v[74:75], v[76:77], s[18:19], v[102:103]
	v_fma_f64 v[102:103], v[76:77], s[18:19], -v[102:103]
	v_fma_f64 v[76:77], v[76:77], s[20:21], -v[108:109]
	v_mul_f64_e32 v[108:109], s[40:41], v[88:89]
	v_add_f64_e32 v[42:43], v[112:113], v[42:43]
	v_add_f64_e32 v[34:35], v[86:87], v[34:35]
	v_mul_f64_e32 v[86:87], s[12:13], v[90:91]
	v_mul_f64_e32 v[90:91], s[40:41], v[90:91]
	v_add_f64_e32 v[28:29], v[92:93], v[28:29]
	v_add_f64_e32 v[24:25], v[44:45], v[24:25]
	v_mul_f64_e32 v[44:45], s[42:43], v[88:89]
	v_add_f64_e32 v[36:37], v[98:99], v[36:37]
	v_mul_f64_e32 v[98:99], s[16:17], v[88:89]
	v_mul_f64_e32 v[88:89], s[14:15], v[88:89]
	v_add_f64_e32 v[2:3], v[110:111], v[2:3]
	v_fma_f64 v[110:111], v[82:83], s[24:25], -v[40:41]
	v_add_f64_e32 v[112:113], v[74:75], v[72:73]
	v_add_f64_e32 v[96:97], v[102:103], v[96:97]
	v_fma_f64 v[102:103], v[80:81], s[20:21], v[104:105]
	v_fma_f64 v[104:105], v[80:81], s[0:1], v[108:109]
	v_fma_f64 v[108:109], v[80:81], s[0:1], -v[108:109]
	v_fma_f64 v[40:41], v[82:83], s[24:25], v[40:41]
	v_add_f64_e32 v[4:5], v[78:79], v[4:5]
	v_add_f64_e32 v[6:7], v[76:77], v[6:7]
	;; [unrolled: 1-line block ×4, first 2 shown]
	v_fma_f64 v[92:93], v[82:83], s[20:21], -v[86:87]
	v_fma_f64 v[84:85], v[82:83], s[0:1], -v[90:91]
	v_fma_f64 v[118:119], v[82:83], s[0:1], v[90:91]
	v_fma_f64 v[116:117], v[82:83], s[20:21], v[86:87]
	v_fma_f64 v[122:123], v[80:81], s[2:3], -v[44:45]
	v_fma_f64 v[44:45], v[80:81], s[2:3], v[44:45]
	v_fma_f64 v[120:121], v[80:81], s[22:23], -v[98:99]
	v_fma_f64 v[72:73], v[80:81], s[24:25], v[88:89]
	v_fma_f64 v[98:99], v[80:81], s[22:23], v[98:99]
	v_fma_f64 v[126:127], v[80:81], s[24:25], -v[88:89]
	v_add_f64_e32 v[74:75], v[110:111], v[10:11]
	v_add_f64_e32 v[86:87], v[94:95], v[24:25]
	;; [unrolled: 1-line block ×8, first 2 shown]
	scratch_load_b32 v0, off, off offset:1536 th:TH_LOAD_LU ; 4-byte Folded Reload
	v_add_f64_e32 v[94:95], v[84:85], v[2:3]
	v_add_f64_e32 v[92:93], v[104:105], v[42:43]
	;; [unrolled: 1-line block ×12, first 2 shown]
	s_wait_loadcnt 0x0
	v_lshlrev_b32_e32 v0, 4, v0
	ds_store_b128 v0, v[52:55]
	ds_store_b128 v0, v[72:75] offset:16
	ds_store_b128 v0, v[92:95] offset:32
	ds_store_b128 v0, v[88:91] offset:48
	ds_store_b128 v0, v[84:87] offset:64
	ds_store_b128 v0, v[80:83] offset:80
	ds_store_b128 v0, v[76:79] offset:96
	ds_store_b128 v0, v[64:67] offset:112
	ds_store_b128 v0, v[56:59] offset:128
	ds_store_b128 v0, v[48:51] offset:144
	ds_store_b128 v0, v[60:63] offset:160
	ds_store_b128 v0, v[68:71] offset:176
	ds_store_b128 v0, v[100:103] offset:192
	ds_store_b128 v0, v[104:107] offset:208
	ds_store_b128 v0, v[112:115] offset:224
	ds_store_b128 v0, v[116:119] offset:240
	ds_store_b128 v0, v[120:123] offset:256
.LBB0_13:
	s_wait_alu 0xfffe
	s_or_b32 exec_lo, exec_lo, s33
	global_wb scope:SCOPE_SE
	s_wait_dscnt 0x0
	s_barrier_signal -1
	s_barrier_wait -1
	global_inv scope:SCOPE_SE
	ds_load_b128 v[52:55], v255 offset:7344
	ds_load_b128 v[48:51], v255 offset:6528
	scratch_load_b128 v[4:7], off, off offset:484 th:TH_LOAD_LU ; 16-byte Folded Reload
	s_mov_b32 s0, 0xe8584caa
	s_mov_b32 s1, 0xbfebb67a
	;; [unrolled: 1-line block ×3, first 2 shown]
	s_wait_alu 0xfffe
	s_mov_b32 s2, s0
	s_mov_b32 s26, 0x523c161c
	;; [unrolled: 1-line block ×16, first 2 shown]
	s_wait_alu 0xfffe
	s_mov_b32 s22, s26
	s_mov_b32 s24, s14
	;; [unrolled: 1-line block ×3, first 2 shown]
	s_wait_loadcnt_dscnt 0x1
	v_mul_f64_e32 v[0:1], v[6:7], v[54:55]
	v_mul_f64_e32 v[2:3], v[6:7], v[52:53]
	s_delay_alu instid0(VALU_DEP_2) | instskip(NEXT) | instid1(VALU_DEP_2)
	v_fma_f64 v[0:1], v[4:5], v[52:53], v[0:1]
	v_fma_f64 v[2:3], v[4:5], v[54:55], -v[2:3]
	ds_load_b128 v[52:55], v255 offset:14688
	ds_load_b128 v[56:59], v255 offset:15504
	scratch_load_b128 v[8:11], off, off offset:468 th:TH_LOAD_LU ; 16-byte Folded Reload
	s_wait_loadcnt_dscnt 0x1
	v_mul_f64_e32 v[4:5], v[10:11], v[54:55]
	v_mul_f64_e32 v[6:7], v[10:11], v[52:53]
	s_delay_alu instid0(VALU_DEP_2) | instskip(NEXT) | instid1(VALU_DEP_2)
	v_fma_f64 v[4:5], v[8:9], v[52:53], v[4:5]
	v_fma_f64 v[6:7], v[8:9], v[54:55], -v[6:7]
	ds_load_b128 v[52:55], v255 offset:8160
	ds_load_b128 v[60:63], v255 offset:8976
	s_clause 0x1
	scratch_load_b128 v[12:15], off, off offset:420 th:TH_LOAD_LU
	scratch_load_b128 v[16:19], off, off offset:436 th:TH_LOAD_LU
	s_wait_loadcnt_dscnt 0x101
	v_mul_f64_e32 v[8:9], v[14:15], v[54:55]
	v_mul_f64_e32 v[10:11], v[14:15], v[52:53]
	s_wait_loadcnt 0x0
	v_mul_f64_e32 v[14:15], v[18:19], v[56:57]
	s_delay_alu instid0(VALU_DEP_3) | instskip(NEXT) | instid1(VALU_DEP_3)
	v_fma_f64 v[8:9], v[12:13], v[52:53], v[8:9]
	v_fma_f64 v[10:11], v[12:13], v[54:55], -v[10:11]
	v_mul_f64_e32 v[12:13], v[18:19], v[58:59]
	scratch_load_b128 v[18:21], off, off offset:500 th:TH_LOAD_LU ; 16-byte Folded Reload
	v_fma_f64 v[14:15], v[16:17], v[58:59], -v[14:15]
	v_fma_f64 v[12:13], v[16:17], v[56:57], v[12:13]
	ds_load_b128 v[52:55], v255 offset:16320
	ds_load_b128 v[56:59], v255 offset:17136
	s_wait_loadcnt_dscnt 0x2
	v_mul_f64_e32 v[16:17], v[20:21], v[62:63]
	s_delay_alu instid0(VALU_DEP_1) | instskip(SKIP_1) | instid1(VALU_DEP_1)
	v_fma_f64 v[64:65], v[18:19], v[60:61], v[16:17]
	v_mul_f64_e32 v[16:17], v[20:21], v[60:61]
	v_fma_f64 v[66:67], v[18:19], v[62:63], -v[16:17]
	scratch_load_b128 v[18:21], off, off offset:516 th:TH_LOAD_LU ; 16-byte Folded Reload
	s_wait_loadcnt_dscnt 0x1
	v_mul_f64_e32 v[16:17], v[20:21], v[54:55]
	s_delay_alu instid0(VALU_DEP_1) | instskip(SKIP_1) | instid1(VALU_DEP_1)
	v_fma_f64 v[68:69], v[18:19], v[52:53], v[16:17]
	v_mul_f64_e32 v[16:17], v[20:21], v[52:53]
	v_fma_f64 v[70:71], v[18:19], v[54:55], -v[16:17]
	ds_load_b128 v[52:55], v255 offset:9792
	ds_load_b128 v[60:63], v255 offset:10608
	scratch_load_b128 v[18:21], off, off offset:532 th:TH_LOAD_LU ; 16-byte Folded Reload
	s_wait_loadcnt_dscnt 0x1
	v_mul_f64_e32 v[16:17], v[20:21], v[54:55]
	s_delay_alu instid0(VALU_DEP_1) | instskip(SKIP_1) | instid1(VALU_DEP_1)
	v_fma_f64 v[72:73], v[18:19], v[52:53], v[16:17]
	v_mul_f64_e32 v[16:17], v[20:21], v[52:53]
	v_fma_f64 v[74:75], v[18:19], v[54:55], -v[16:17]
	scratch_load_b128 v[18:21], off, off offset:548 th:TH_LOAD_LU ; 16-byte Folded Reload
	s_wait_loadcnt 0x0
	v_mul_f64_e32 v[16:17], v[20:21], v[58:59]
	s_delay_alu instid0(VALU_DEP_1) | instskip(SKIP_1) | instid1(VALU_DEP_1)
	v_fma_f64 v[76:77], v[18:19], v[56:57], v[16:17]
	v_mul_f64_e32 v[16:17], v[20:21], v[56:57]
	v_fma_f64 v[78:79], v[18:19], v[58:59], -v[16:17]
	scratch_load_b128 v[18:21], off, off offset:580 th:TH_LOAD_LU ; 16-byte Folded Reload
	ds_load_b128 v[52:55], v255 offset:17952
	ds_load_b128 v[56:59], v255 offset:18768
	s_wait_loadcnt_dscnt 0x2
	v_mul_f64_e32 v[16:17], v[20:21], v[62:63]
	s_delay_alu instid0(VALU_DEP_1) | instskip(SKIP_1) | instid1(VALU_DEP_1)
	v_fma_f64 v[80:81], v[18:19], v[60:61], v[16:17]
	v_mul_f64_e32 v[16:17], v[20:21], v[60:61]
	v_fma_f64 v[82:83], v[18:19], v[62:63], -v[16:17]
	scratch_load_b128 v[18:21], off, off offset:564 th:TH_LOAD_LU ; 16-byte Folded Reload
	s_wait_loadcnt_dscnt 0x1
	v_mul_f64_e32 v[16:17], v[20:21], v[54:55]
	s_delay_alu instid0(VALU_DEP_1) | instskip(SKIP_1) | instid1(VALU_DEP_1)
	v_fma_f64 v[84:85], v[18:19], v[52:53], v[16:17]
	v_mul_f64_e32 v[16:17], v[20:21], v[52:53]
	v_fma_f64 v[86:87], v[18:19], v[54:55], -v[16:17]
	ds_load_b128 v[52:55], v255 offset:11424
	ds_load_b128 v[60:63], v255 offset:12240
	scratch_load_b128 v[18:21], off, off offset:1200 th:TH_LOAD_LU ; 16-byte Folded Reload
	s_wait_loadcnt_dscnt 0x1
	v_mul_f64_e32 v[16:17], v[20:21], v[54:55]
	s_delay_alu instid0(VALU_DEP_1) | instskip(SKIP_1) | instid1(VALU_DEP_1)
	v_fma_f64 v[88:89], v[18:19], v[52:53], v[16:17]
	v_mul_f64_e32 v[16:17], v[20:21], v[52:53]
	v_fma_f64 v[90:91], v[18:19], v[54:55], -v[16:17]
	scratch_load_b128 v[18:21], off, off offset:1184 th:TH_LOAD_LU ; 16-byte Folded Reload
	s_wait_loadcnt 0x0
	v_mul_f64_e32 v[16:17], v[20:21], v[58:59]
	s_delay_alu instid0(VALU_DEP_1) | instskip(SKIP_1) | instid1(VALU_DEP_1)
	v_fma_f64 v[92:93], v[18:19], v[56:57], v[16:17]
	v_mul_f64_e32 v[16:17], v[20:21], v[56:57]
	v_fma_f64 v[94:95], v[18:19], v[58:59], -v[16:17]
	scratch_load_b128 v[18:21], off, off offset:1232 th:TH_LOAD_LU ; 16-byte Folded Reload
	s_wait_loadcnt_dscnt 0x0
	v_mul_f64_e32 v[16:17], v[20:21], v[62:63]
	s_delay_alu instid0(VALU_DEP_1) | instskip(SKIP_1) | instid1(VALU_DEP_1)
	v_fma_f64 v[96:97], v[18:19], v[60:61], v[16:17]
	v_mul_f64_e32 v[16:17], v[20:21], v[60:61]
	v_fma_f64 v[60:61], v[18:19], v[62:63], -v[16:17]
	ds_load_b128 v[16:19], v255 offset:19584
	ds_load_b128 v[20:23], v255 offset:20400
	scratch_load_b128 v[26:29], off, off offset:1216 th:TH_LOAD_LU ; 16-byte Folded Reload
	s_wait_loadcnt_dscnt 0x1
	v_mul_f64_e32 v[24:25], v[28:29], v[18:19]
	s_delay_alu instid0(VALU_DEP_1) | instskip(SKIP_1) | instid1(VALU_DEP_1)
	v_fma_f64 v[62:63], v[26:27], v[16:17], v[24:25]
	v_mul_f64_e32 v[16:17], v[28:29], v[16:17]
	v_fma_f64 v[98:99], v[26:27], v[18:19], -v[16:17]
	ds_load_b128 v[16:19], v255 offset:13056
	ds_load_b128 v[24:27], v255 offset:13872
	scratch_load_b128 v[30:33], off, off offset:1264 th:TH_LOAD_LU ; 16-byte Folded Reload
	s_wait_loadcnt_dscnt 0x1
	v_mul_f64_e32 v[28:29], v[32:33], v[18:19]
	s_delay_alu instid0(VALU_DEP_1) | instskip(SKIP_1) | instid1(VALU_DEP_1)
	v_fma_f64 v[100:101], v[30:31], v[16:17], v[28:29]
	v_mul_f64_e32 v[16:17], v[32:33], v[16:17]
	v_fma_f64 v[102:103], v[30:31], v[18:19], -v[16:17]
	scratch_load_b128 v[28:31], off, off offset:1248 th:TH_LOAD_LU ; 16-byte Folded Reload
	s_wait_loadcnt 0x0
	v_mul_f64_e32 v[16:17], v[30:31], v[22:23]
	s_delay_alu instid0(VALU_DEP_1)
	v_fma_f64 v[104:105], v[28:29], v[20:21], v[16:17]
	v_mul_f64_e32 v[16:17], v[30:31], v[20:21]
	scratch_load_b128 v[18:21], off, off offset:1296 th:TH_LOAD_LU ; 16-byte Folded Reload
	v_fma_f64 v[106:107], v[28:29], v[22:23], -v[16:17]
	s_wait_loadcnt_dscnt 0x0
	v_mul_f64_e32 v[16:17], v[20:21], v[26:27]
	s_delay_alu instid0(VALU_DEP_1)
	v_fma_f64 v[108:109], v[18:19], v[24:25], v[16:17]
	v_mul_f64_e32 v[16:17], v[20:21], v[24:25]
	scratch_load_b128 v[22:25], off, off offset:1280 th:TH_LOAD_LU ; 16-byte Folded Reload
	v_fma_f64 v[110:111], v[18:19], v[26:27], -v[16:17]
	ds_load_b128 v[16:19], v255 offset:21216
	s_wait_loadcnt_dscnt 0x0
	v_mul_f64_e32 v[20:21], v[24:25], v[18:19]
	s_delay_alu instid0(VALU_DEP_1) | instskip(SKIP_2) | instid1(VALU_DEP_2)
	v_fma_f64 v[112:113], v[22:23], v[16:17], v[20:21]
	v_mul_f64_e32 v[16:17], v[24:25], v[16:17]
	v_add_f64_e32 v[24:25], v[0:1], v[4:5]
	v_fma_f64 v[114:115], v[22:23], v[18:19], -v[16:17]
	ds_load_b128 v[16:19], v255
	ds_load_b128 v[20:23], v255 offset:816
	ds_load_b128 v[32:35], v255 offset:1632
	;; [unrolled: 1-line block ×7, first 2 shown]
	global_wb scope:SCOPE_SE
	s_wait_dscnt 0x0
	s_barrier_signal -1
	s_barrier_wait -1
	global_inv scope:SCOPE_SE
	v_fma_f64 v[26:27], v[24:25], -0.5, v[16:17]
	v_add_f64_e32 v[24:25], v[2:3], v[6:7]
	v_add_f64_e32 v[16:17], v[16:17], v[0:1]
	v_add_f64_e64 v[0:1], v[0:1], -v[4:5]
	s_delay_alu instid0(VALU_DEP_3) | instskip(SKIP_4) | instid1(VALU_DEP_4)
	v_fma_f64 v[30:31], v[24:25], -0.5, v[18:19]
	v_add_f64_e32 v[18:19], v[18:19], v[2:3]
	v_add_f64_e64 v[2:3], v[2:3], -v[6:7]
	v_add_f64_e32 v[16:17], v[16:17], v[4:5]
	v_add_f64_e32 v[4:5], v[22:23], v[10:11]
	;; [unrolled: 1-line block ×3, first 2 shown]
	s_delay_alu instid0(VALU_DEP_4)
	v_fma_f64 v[24:25], v[2:3], s[0:1], v[26:27]
	v_fma_f64 v[28:29], v[2:3], s[2:3], v[26:27]
	;; [unrolled: 1-line block ×4, first 2 shown]
	scratch_load_b32 v0, off, off offset:1176 th:TH_LOAD_LU ; 4-byte Folded Reload
	v_add_f64_e32 v[2:3], v[10:11], v[14:15]
	v_add_f64_e64 v[10:11], v[10:11], -v[14:15]
	v_add_f64_e32 v[6:7], v[20:21], v[8:9]
	s_wait_loadcnt 0x0
	ds_store_b128 v0, v[16:19]
	ds_store_b128 v0, v[24:27] offset:272
	ds_store_b128 v0, v[28:31] offset:544
	v_add_f64_e32 v[0:1], v[8:9], v[12:13]
	v_fma_f64 v[2:3], v[2:3], -0.5, v[22:23]
	v_add_f64_e32 v[18:19], v[4:5], v[14:15]
	v_add_f64_e64 v[4:5], v[8:9], -v[12:13]
	v_add_f64_e32 v[16:17], v[6:7], v[12:13]
	v_add_f64_e64 v[8:9], v[66:67], -v[70:71]
	v_add_f64_e32 v[6:7], v[32:33], v[64:65]
	v_fma_f64 v[0:1], v[0:1], -0.5, v[20:21]
	v_fma_f64 v[22:23], v[4:5], s[2:3], v[2:3]
	v_fma_f64 v[26:27], v[4:5], s[0:1], v[2:3]
	v_add_f64_e32 v[2:3], v[66:67], v[70:71]
	v_add_f64_e32 v[4:5], v[34:35], v[66:67]
	v_fma_f64 v[20:21], v[10:11], s[0:1], v[0:1]
	v_fma_f64 v[24:25], v[10:11], s[2:3], v[0:1]
	scratch_load_b32 v0, off, off offset:1168 th:TH_LOAD_LU ; 4-byte Folded Reload
	s_wait_loadcnt 0x0
	ds_store_b128 v0, v[16:19]
	ds_store_b128 v0, v[20:23] offset:272
	ds_store_b128 v0, v[24:27] offset:544
	v_add_f64_e32 v[0:1], v[64:65], v[68:69]
	v_fma_f64 v[2:3], v[2:3], -0.5, v[34:35]
	v_add_f64_e32 v[18:19], v[4:5], v[70:71]
	v_add_f64_e64 v[4:5], v[64:65], -v[68:69]
	v_add_f64_e32 v[16:17], v[6:7], v[68:69]
	v_add_f64_e32 v[6:7], v[36:37], v[72:73]
	v_fma_f64 v[0:1], v[0:1], -0.5, v[32:33]
	s_delay_alu instid0(VALU_DEP_4)
	v_fma_f64 v[22:23], v[4:5], s[2:3], v[2:3]
	v_fma_f64 v[26:27], v[4:5], s[0:1], v[2:3]
	v_add_f64_e32 v[2:3], v[74:75], v[78:79]
	v_add_f64_e32 v[4:5], v[38:39], v[74:75]
	v_fma_f64 v[20:21], v[8:9], s[0:1], v[0:1]
	v_fma_f64 v[24:25], v[8:9], s[2:3], v[0:1]
	scratch_load_b32 v0, off, off offset:1160 th:TH_LOAD_LU ; 4-byte Folded Reload
	v_add_f64_e64 v[8:9], v[74:75], -v[78:79]
	s_wait_loadcnt 0x0
	ds_store_b128 v0, v[16:19]
	ds_store_b128 v0, v[20:23] offset:272
	ds_store_b128 v0, v[24:27] offset:544
	v_add_f64_e32 v[0:1], v[72:73], v[76:77]
	v_fma_f64 v[2:3], v[2:3], -0.5, v[38:39]
	v_add_f64_e32 v[18:19], v[4:5], v[78:79]
	v_add_f64_e64 v[4:5], v[72:73], -v[76:77]
	v_add_f64_e32 v[16:17], v[6:7], v[76:77]
	v_add_f64_e32 v[6:7], v[40:41], v[80:81]
	v_fma_f64 v[0:1], v[0:1], -0.5, v[36:37]
	s_delay_alu instid0(VALU_DEP_4)
	v_fma_f64 v[22:23], v[4:5], s[2:3], v[2:3]
	v_fma_f64 v[26:27], v[4:5], s[0:1], v[2:3]
	v_add_f64_e32 v[2:3], v[82:83], v[86:87]
	v_add_f64_e32 v[4:5], v[42:43], v[82:83]
	v_fma_f64 v[20:21], v[8:9], s[0:1], v[0:1]
	v_fma_f64 v[24:25], v[8:9], s[2:3], v[0:1]
	scratch_load_b32 v0, off, off offset:1152 th:TH_LOAD_LU ; 4-byte Folded Reload
	v_add_f64_e64 v[8:9], v[82:83], -v[86:87]
	;; [unrolled: 20-line block ×6, first 2 shown]
	s_wait_loadcnt 0x0
	ds_store_b128 v0, v[16:19]
	ds_store_b128 v0, v[20:23] offset:272
	ds_store_b128 v0, v[24:27] offset:544
	v_add_f64_e32 v[0:1], v[108:109], v[112:113]
	v_fma_f64 v[2:3], v[2:3], -0.5, v[50:51]
	v_add_f64_e32 v[18:19], v[4:5], v[114:115]
	v_add_f64_e64 v[4:5], v[108:109], -v[112:113]
	v_add_f64_e32 v[16:17], v[6:7], v[112:113]
	v_fma_f64 v[0:1], v[0:1], -0.5, v[48:49]
	s_delay_alu instid0(VALU_DEP_3) | instskip(SKIP_1) | instid1(VALU_DEP_3)
	v_fma_f64 v[22:23], v[4:5], s[2:3], v[2:3]
	v_fma_f64 v[26:27], v[4:5], s[0:1], v[2:3]
	;; [unrolled: 1-line block ×4, first 2 shown]
	scratch_load_b32 v0, off, off offset:856 th:TH_LOAD_LU ; 4-byte Folded Reload
	s_wait_loadcnt 0x0
	ds_store_b128 v0, v[16:19]
	ds_store_b128 v0, v[20:23] offset:272
	ds_store_b128 v0, v[24:27] offset:544
	global_wb scope:SCOPE_SE
	s_wait_dscnt 0x0
	s_barrier_signal -1
	s_barrier_wait -1
	global_inv scope:SCOPE_SE
	ds_load_b128 v[16:19], v255 offset:2448
	ds_load_b128 v[20:23], v255 offset:1632
	scratch_load_b128 v[8:11], off, off offset:404 th:TH_LOAD_LU ; 16-byte Folded Reload
	s_wait_loadcnt_dscnt 0x1
	v_mul_f64_e32 v[0:1], v[10:11], v[18:19]
	v_mul_f64_e32 v[2:3], v[10:11], v[16:17]
	s_delay_alu instid0(VALU_DEP_2) | instskip(NEXT) | instid1(VALU_DEP_2)
	v_fma_f64 v[0:1], v[8:9], v[16:17], v[0:1]
	v_fma_f64 v[2:3], v[8:9], v[18:19], -v[2:3]
	ds_load_b128 v[16:19], v255 offset:3264
	ds_load_b128 v[24:27], v255 offset:4080
	s_wait_dscnt 0x1
	v_mul_f64_e32 v[4:5], v[10:11], v[18:19]
	v_mul_f64_e32 v[6:7], v[10:11], v[16:17]
	s_delay_alu instid0(VALU_DEP_2) | instskip(NEXT) | instid1(VALU_DEP_2)
	v_fma_f64 v[4:5], v[8:9], v[16:17], v[4:5]
	v_fma_f64 v[6:7], v[8:9], v[18:19], -v[6:7]
	ds_load_b128 v[16:19], v255 offset:4896
	ds_load_b128 v[28:31], v255 offset:5712
	scratch_load_b128 v[32:35], off, off offset:452 th:TH_LOAD_LU ; 16-byte Folded Reload
	s_wait_loadcnt_dscnt 0x1
	v_mul_f64_e32 v[8:9], v[34:35], v[18:19]
	v_mul_f64_e32 v[10:11], v[34:35], v[16:17]
	s_wait_dscnt 0x0
	v_mul_f64_e32 v[12:13], v[34:35], v[30:31]
	v_mul_f64_e32 v[14:15], v[34:35], v[28:29]
	s_delay_alu instid0(VALU_DEP_4) | instskip(NEXT) | instid1(VALU_DEP_4)
	v_fma_f64 v[8:9], v[32:33], v[16:17], v[8:9]
	v_fma_f64 v[10:11], v[32:33], v[18:19], -v[10:11]
	s_delay_alu instid0(VALU_DEP_4) | instskip(NEXT) | instid1(VALU_DEP_4)
	v_fma_f64 v[12:13], v[32:33], v[28:29], v[12:13]
	v_fma_f64 v[14:15], v[32:33], v[30:31], -v[14:15]
	ds_load_b128 v[16:19], v255 offset:7344
	ds_load_b128 v[28:31], v255 offset:6528
	scratch_load_b128 v[38:41], off, off offset:712 th:TH_LOAD_LU ; 16-byte Folded Reload
	s_wait_loadcnt_dscnt 0x1
	v_mul_f64_e32 v[32:33], v[40:41], v[18:19]
	s_delay_alu instid0(VALU_DEP_1) | instskip(SKIP_1) | instid1(VALU_DEP_1)
	v_fma_f64 v[56:57], v[38:39], v[16:17], v[32:33]
	v_mul_f64_e32 v[16:17], v[40:41], v[16:17]
	v_fma_f64 v[58:59], v[38:39], v[18:19], -v[16:17]
	ds_load_b128 v[16:19], v255 offset:8160
	ds_load_b128 v[32:35], v255 offset:8976
	s_wait_dscnt 0x1
	v_mul_f64_e32 v[36:37], v[40:41], v[18:19]
	s_delay_alu instid0(VALU_DEP_1) | instskip(SKIP_1) | instid1(VALU_DEP_1)
	v_fma_f64 v[60:61], v[38:39], v[16:17], v[36:37]
	v_mul_f64_e32 v[16:17], v[40:41], v[16:17]
	v_fma_f64 v[62:63], v[38:39], v[18:19], -v[16:17]
	ds_load_b128 v[16:19], v255 offset:9792
	ds_load_b128 v[36:39], v255 offset:10608
	scratch_load_b128 v[42:45], off, off offset:680 th:TH_LOAD_LU ; 16-byte Folded Reload
	s_wait_loadcnt_dscnt 0x1
	v_mul_f64_e32 v[40:41], v[44:45], v[18:19]
	s_delay_alu instid0(VALU_DEP_1) | instskip(SKIP_1) | instid1(VALU_DEP_1)
	v_fma_f64 v[64:65], v[42:43], v[16:17], v[40:41]
	v_mul_f64_e32 v[16:17], v[44:45], v[16:17]
	v_fma_f64 v[66:67], v[42:43], v[18:19], -v[16:17]
	s_wait_dscnt 0x0
	v_mul_f64_e32 v[16:17], v[44:45], v[38:39]
	s_delay_alu instid0(VALU_DEP_1) | instskip(SKIP_1) | instid1(VALU_DEP_1)
	v_fma_f64 v[68:69], v[42:43], v[36:37], v[16:17]
	v_mul_f64_e32 v[16:17], v[44:45], v[36:37]
	v_fma_f64 v[70:71], v[42:43], v[38:39], -v[16:17]
	ds_load_b128 v[16:19], v255 offset:12240
	ds_load_b128 v[36:39], v255 offset:11424
	scratch_load_b128 v[46:49], off, off offset:696 th:TH_LOAD_LU ; 16-byte Folded Reload
	s_wait_loadcnt_dscnt 0x1
	v_mul_f64_e32 v[40:41], v[48:49], v[18:19]
	s_delay_alu instid0(VALU_DEP_1) | instskip(SKIP_1) | instid1(VALU_DEP_2)
	v_fma_f64 v[72:73], v[46:47], v[16:17], v[40:41]
	v_mul_f64_e32 v[16:17], v[48:49], v[16:17]
	v_add_f64_e32 v[124:125], v[64:65], v[72:73]
	s_delay_alu instid0(VALU_DEP_2) | instskip(SKIP_4) | instid1(VALU_DEP_1)
	v_fma_f64 v[74:75], v[46:47], v[18:19], -v[16:17]
	ds_load_b128 v[16:19], v255 offset:13056
	ds_load_b128 v[40:43], v255 offset:13872
	s_wait_dscnt 0x1
	v_mul_f64_e32 v[44:45], v[48:49], v[18:19]
	v_fma_f64 v[76:77], v[46:47], v[16:17], v[44:45]
	v_mul_f64_e32 v[16:17], v[48:49], v[16:17]
	s_delay_alu instid0(VALU_DEP_1)
	v_fma_f64 v[78:79], v[46:47], v[18:19], -v[16:17]
	ds_load_b128 v[16:19], v255 offset:14688
	ds_load_b128 v[44:47], v255 offset:15504
	scratch_load_b128 v[50:53], off, off offset:648 th:TH_LOAD_LU ; 16-byte Folded Reload
	s_wait_loadcnt_dscnt 0x1
	v_mul_f64_e32 v[48:49], v[52:53], v[18:19]
	s_delay_alu instid0(VALU_DEP_1) | instskip(SKIP_1) | instid1(VALU_DEP_1)
	v_fma_f64 v[80:81], v[50:51], v[16:17], v[48:49]
	v_mul_f64_e32 v[16:17], v[52:53], v[16:17]
	v_fma_f64 v[82:83], v[50:51], v[18:19], -v[16:17]
	s_wait_dscnt 0x0
	v_mul_f64_e32 v[16:17], v[52:53], v[46:47]
	s_delay_alu instid0(VALU_DEP_1) | instskip(SKIP_1) | instid1(VALU_DEP_1)
	v_fma_f64 v[84:85], v[50:51], v[44:45], v[16:17]
	v_mul_f64_e32 v[16:17], v[52:53], v[44:45]
	v_fma_f64 v[86:87], v[50:51], v[46:47], -v[16:17]
	ds_load_b128 v[16:19], v255 offset:17136
	ds_load_b128 v[44:47], v255 offset:16320
	scratch_load_b128 v[94:97], off, off offset:664 th:TH_LOAD_LU ; 16-byte Folded Reload
	s_wait_loadcnt_dscnt 0x1
	v_mul_f64_e32 v[48:49], v[96:97], v[18:19]
	s_delay_alu instid0(VALU_DEP_1) | instskip(SKIP_1) | instid1(VALU_DEP_1)
	v_fma_f64 v[88:89], v[94:95], v[16:17], v[48:49]
	v_mul_f64_e32 v[16:17], v[96:97], v[16:17]
	v_fma_f64 v[90:91], v[94:95], v[18:19], -v[16:17]
	ds_load_b128 v[16:19], v255 offset:17952
	ds_load_b128 v[48:51], v255 offset:18768
	s_wait_dscnt 0x1
	v_mul_f64_e32 v[52:53], v[96:97], v[18:19]
	s_delay_alu instid0(VALU_DEP_1) | instskip(SKIP_1) | instid1(VALU_DEP_1)
	v_fma_f64 v[92:93], v[94:95], v[16:17], v[52:53]
	v_mul_f64_e32 v[16:17], v[96:97], v[16:17]
	v_fma_f64 v[94:95], v[94:95], v[18:19], -v[16:17]
	ds_load_b128 v[16:19], v255 offset:19584
	ds_load_b128 v[52:55], v255 offset:20400
	scratch_load_b128 v[102:105], off, off offset:632 th:TH_LOAD_LU ; 16-byte Folded Reload
	s_wait_loadcnt_dscnt 0x1
	v_mul_f64_e32 v[96:97], v[104:105], v[18:19]
	s_delay_alu instid0(VALU_DEP_1) | instskip(SKIP_1) | instid1(VALU_DEP_1)
	v_fma_f64 v[96:97], v[102:103], v[16:17], v[96:97]
	v_mul_f64_e32 v[16:17], v[104:105], v[16:17]
	v_fma_f64 v[98:99], v[102:103], v[18:19], -v[16:17]
	s_wait_dscnt 0x0
	v_mul_f64_e32 v[16:17], v[104:105], v[54:55]
	s_delay_alu instid0(VALU_DEP_1) | instskip(SKIP_1) | instid1(VALU_DEP_1)
	v_fma_f64 v[100:101], v[102:103], v[52:53], v[16:17]
	v_mul_f64_e32 v[16:17], v[104:105], v[52:53]
	v_fma_f64 v[52:53], v[102:103], v[54:55], -v[16:17]
	scratch_load_b128 v[102:105], off, off offset:760 th:TH_LOAD_LU ; 16-byte Folded Reload
	s_wait_loadcnt 0x0
	v_mul_f64_e32 v[16:17], v[104:105], v[26:27]
	s_delay_alu instid0(VALU_DEP_1) | instskip(SKIP_1) | instid1(VALU_DEP_1)
	v_fma_f64 v[54:55], v[102:103], v[24:25], v[16:17]
	v_mul_f64_e32 v[16:17], v[104:105], v[24:25]
	v_fma_f64 v[102:103], v[102:103], v[26:27], -v[16:17]
	scratch_load_b128 v[24:27], off, off offset:728 th:TH_LOAD_LU ; 16-byte Folded Reload
	s_wait_loadcnt 0x0
	;; [unrolled: 7-line block ×4, first 2 shown]
	v_mul_f64_e32 v[16:17], v[26:27], v[38:39]
	s_delay_alu instid0(VALU_DEP_1)
	v_fma_f64 v[112:113], v[24:25], v[36:37], v[16:17]
	v_mul_f64_e32 v[16:17], v[26:27], v[36:37]
	v_add_f64_e32 v[36:37], v[8:9], v[88:89]
	v_add_f64_e64 v[8:9], v[8:9], -v[88:89]
	v_add_f64_e32 v[88:89], v[58:59], v[82:83]
	v_add_f64_e64 v[58:59], v[58:59], -v[82:83]
	v_fma_f64 v[114:115], v[24:25], v[38:39], -v[16:17]
	scratch_load_b128 v[24:27], off, off offset:824 th:TH_LOAD_LU ; 16-byte Folded Reload
	v_add_f64_e32 v[38:39], v[10:11], v[90:91]
	v_add_f64_e64 v[10:11], v[10:11], -v[90:91]
	s_wait_loadcnt 0x0
	v_mul_f64_e32 v[16:17], v[26:27], v[42:43]
	s_delay_alu instid0(VALU_DEP_1) | instskip(SKIP_4) | instid1(VALU_DEP_4)
	v_fma_f64 v[116:117], v[24:25], v[40:41], v[16:17]
	v_mul_f64_e32 v[16:17], v[26:27], v[40:41]
	v_add_f64_e32 v[40:41], v[0:1], v[96:97]
	v_add_f64_e64 v[0:1], v[0:1], -v[96:97]
	v_add_f64_e32 v[96:97], v[66:67], v[74:75]
	v_fma_f64 v[118:119], v[24:25], v[42:43], -v[16:17]
	scratch_load_b128 v[24:27], off, off offset:776 th:TH_LOAD_LU ; 16-byte Folded Reload
	v_add_f64_e32 v[42:43], v[2:3], v[98:99]
	v_add_f64_e64 v[2:3], v[2:3], -v[98:99]
	v_add_f64_e32 v[98:99], v[36:37], v[40:41]
	v_mul_f64_e32 v[32:33], s[26:27], v[0:1]
	s_delay_alu instid0(VALU_DEP_4) | instskip(NEXT) | instid1(VALU_DEP_4)
	v_add_f64_e32 v[90:91], v[38:39], v[42:43]
	v_mul_f64_e32 v[34:35], s[26:27], v[2:3]
	s_delay_alu instid0(VALU_DEP_3) | instskip(NEXT) | instid1(VALU_DEP_2)
	v_fma_f64 v[32:33], v[8:9], s[12:13], v[32:33]
	v_fma_f64 v[34:35], v[10:11], s[12:13], v[34:35]
	s_delay_alu instid0(VALU_DEP_1) | instskip(SKIP_2) | instid1(VALU_DEP_1)
	v_fma_f64 v[34:35], v[58:59], s[14:15], v[34:35]
	s_wait_loadcnt 0x0
	v_mul_f64_e32 v[16:17], v[26:27], v[46:47]
	v_fma_f64 v[120:121], v[24:25], v[44:45], v[16:17]
	v_mul_f64_e32 v[16:17], v[26:27], v[44:45]
	s_delay_alu instid0(VALU_DEP_1) | instskip(SKIP_3) | instid1(VALU_DEP_1)
	v_fma_f64 v[44:45], v[24:25], v[46:47], -v[16:17]
	scratch_load_b128 v[24:27], off, off offset:840 th:TH_LOAD_LU ; 16-byte Folded Reload
	s_wait_loadcnt 0x0
	v_mul_f64_e32 v[16:17], v[26:27], v[50:51]
	v_fma_f64 v[46:47], v[24:25], v[48:49], v[16:17]
	v_mul_f64_e32 v[16:17], v[26:27], v[48:49]
	scratch_load_b128 v[26:29], off, off offset:808 th:TH_LOAD_LU ; 16-byte Folded Reload
	v_fma_f64 v[48:49], v[24:25], v[50:51], -v[16:17]
	ds_load_b128 v[16:19], v255 offset:21216
	s_wait_loadcnt_dscnt 0x0
	v_mul_f64_e32 v[24:25], v[28:29], v[18:19]
	s_delay_alu instid0(VALU_DEP_1) | instskip(SKIP_1) | instid1(VALU_DEP_1)
	v_fma_f64 v[50:51], v[26:27], v[16:17], v[24:25]
	v_mul_f64_e32 v[16:17], v[28:29], v[16:17]
	v_fma_f64 v[122:123], v[26:27], v[18:19], -v[16:17]
	v_add_f64_e32 v[16:17], v[88:89], v[90:91]
	s_delay_alu instid0(VALU_DEP_1) | instskip(SKIP_1) | instid1(VALU_DEP_2)
	v_add_f64_e32 v[16:17], v[66:67], v[16:17]
	v_add_f64_e64 v[66:67], v[66:67], -v[74:75]
	v_add_f64_e32 v[30:31], v[74:75], v[16:17]
	v_add_f64_e32 v[74:75], v[56:57], v[80:81]
	v_add_f64_e64 v[56:57], v[56:57], -v[80:81]
	s_delay_alu instid0(VALU_DEP_4) | instskip(NEXT) | instid1(VALU_DEP_3)
	v_fma_f64 v[126:127], v[66:67], s[18:19], v[34:35]
	v_add_f64_e32 v[16:17], v[74:75], v[98:99]
	s_delay_alu instid0(VALU_DEP_3) | instskip(NEXT) | instid1(VALU_DEP_2)
	v_fma_f64 v[32:33], v[56:57], s[14:15], v[32:33]
	v_add_f64_e32 v[16:17], v[64:65], v[16:17]
	v_add_f64_e64 v[64:65], v[64:65], -v[72:73]
	s_delay_alu instid0(VALU_DEP_2)
	v_add_f64_e32 v[28:29], v[72:73], v[16:17]
	ds_load_b128 v[16:19], v255
	ds_load_b128 v[24:27], v255 offset:816
	v_fma_f64 v[82:83], v[64:65], s[18:19], v[32:33]
	global_wb scope:SCOPE_SE
	s_wait_dscnt 0x0
	s_barrier_signal -1
	s_barrier_wait -1
	global_inv scope:SCOPE_SE
	v_fma_f64 v[72:73], v[40:41], s[20:21], v[16:17]
	v_fma_f64 v[80:81], v[42:43], s[20:21], v[18:19]
	v_add_f64_e32 v[30:31], v[18:19], v[30:31]
	v_add_f64_e32 v[28:29], v[16:17], v[28:29]
	s_delay_alu instid0(VALU_DEP_4) | instskip(NEXT) | instid1(VALU_DEP_4)
	v_fma_f64 v[72:73], v[36:37], s[8:9], v[72:73]
	v_fma_f64 v[80:81], v[38:39], s[8:9], v[80:81]
	s_delay_alu instid0(VALU_DEP_2) | instskip(NEXT) | instid1(VALU_DEP_2)
	v_fma_f64 v[72:73], v[74:75], -0.5, v[72:73]
	v_fma_f64 v[80:81], v[88:89], -0.5, v[80:81]
	s_delay_alu instid0(VALU_DEP_2) | instskip(NEXT) | instid1(VALU_DEP_2)
	v_fma_f64 v[32:33], v[124:125], s[16:17], v[72:73]
	v_fma_f64 v[34:35], v[96:97], s[16:17], v[80:81]
	;; [unrolled: 1-line block ×4, first 2 shown]
	s_delay_alu instid0(VALU_DEP_4) | instskip(NEXT) | instid1(VALU_DEP_4)
	v_add_f64_e64 v[32:33], v[32:33], -v[126:127]
	v_add_f64_e32 v[34:35], v[82:83], v[34:35]
	ds_store_b128 v255, v[28:31]
	v_fma_f64 v[28:29], v[126:127], 2.0, v[32:33]
	ds_store_b128 v255, v[32:35] offset:816
	v_add_f64_e32 v[32:33], v[16:17], v[74:75]
	v_add_f64_e32 v[16:17], v[124:125], v[98:99]
	v_fma_f64 v[30:31], v[82:83], -2.0, v[34:35]
	v_add_f64_e32 v[34:35], v[18:19], v[88:89]
	v_fma_f64 v[82:83], v[96:97], s[20:21], v[18:19]
	v_fma_f64 v[126:127], v[38:39], s[20:21], v[18:19]
	v_add_f64_e32 v[18:19], v[96:97], v[90:91]
	v_fma_f64 v[16:17], v[16:17], -0.5, v[32:33]
	v_add_f64_e32 v[32:33], v[66:67], v[2:3]
	s_delay_alu instid0(VALU_DEP_3) | instskip(SKIP_1) | instid1(VALU_DEP_3)
	v_fma_f64 v[18:19], v[18:19], -0.5, v[34:35]
	v_fma_f64 v[34:35], v[42:43], s[8:9], v[82:83]
	v_add_f64_e64 v[90:91], v[32:33], -v[10:11]
	v_add_f64_e32 v[32:33], v[64:65], v[0:1]
	s_delay_alu instid0(VALU_DEP_3) | instskip(SKIP_1) | instid1(VALU_DEP_3)
	v_fma_f64 v[34:35], v[88:89], -0.5, v[34:35]
	s_wait_alu 0xfffe
	v_fma_f64 v[16:17], v[90:91], s[24:25], v[16:17]
	s_delay_alu instid0(VALU_DEP_3) | instskip(SKIP_1) | instid1(VALU_DEP_4)
	v_add_f64_e64 v[98:99], v[32:33], -v[8:9]
	v_fma_f64 v[32:33], v[40:41], s[8:9], v[72:73]
	v_fma_f64 v[34:35], v[38:39], s[16:17], v[34:35]
	v_mul_f64_e32 v[38:39], s[22:23], v[64:65]
	s_delay_alu instid0(VALU_DEP_4) | instskip(NEXT) | instid1(VALU_DEP_4)
	v_fma_f64 v[18:19], v[98:99], s[14:15], v[18:19]
	v_fma_f64 v[32:33], v[74:75], -0.5, v[32:33]
	s_delay_alu instid0(VALU_DEP_3) | instskip(NEXT) | instid1(VALU_DEP_2)
	v_fma_f64 v[38:39], v[0:1], s[12:13], v[38:39]
	v_fma_f64 v[32:33], v[36:37], s[16:17], v[32:33]
	v_mul_f64_e32 v[36:37], s[22:23], v[66:67]
	s_delay_alu instid0(VALU_DEP_3) | instskip(NEXT) | instid1(VALU_DEP_2)
	v_fma_f64 v[38:39], v[56:57], s[24:25], v[38:39]
	v_fma_f64 v[36:37], v[2:3], s[12:13], v[36:37]
	s_delay_alu instid0(VALU_DEP_2) | instskip(SKIP_1) | instid1(VALU_DEP_3)
	v_fma_f64 v[82:83], v[8:9], s[18:19], v[38:39]
	v_mul_f64_e32 v[38:39], s[14:15], v[98:99]
	v_fma_f64 v[36:37], v[58:59], s[24:25], v[36:37]
	s_delay_alu instid0(VALU_DEP_3) | instskip(NEXT) | instid1(VALU_DEP_3)
	v_add_f64_e32 v[34:35], v[82:83], v[34:35]
	v_fma_f64 v[38:39], v[38:39], -2.0, v[18:19]
	s_delay_alu instid0(VALU_DEP_3) | instskip(SKIP_1) | instid1(VALU_DEP_2)
	v_fma_f64 v[72:73], v[10:11], s[18:19], v[36:37]
	v_mul_f64_e32 v[36:37], s[14:15], v[90:91]
	v_add_f64_e64 v[32:33], v[32:33], -v[72:73]
	s_delay_alu instid0(VALU_DEP_2)
	v_fma_f64 v[36:37], v[36:37], 2.0, v[16:17]
	ds_store_b128 v255, v[16:19] offset:2448
	v_fma_f64 v[18:19], v[82:83], -2.0, v[34:35]
	ds_store_b128 v255, v[32:35] offset:1632
	v_fma_f64 v[16:17], v[72:73], 2.0, v[32:33]
	v_mul_f64_e32 v[32:33], s[12:13], v[64:65]
	v_fma_f64 v[34:35], v[96:97], s[8:9], v[126:127]
	v_add_f64_e32 v[64:65], v[70:71], v[78:79]
	s_delay_alu instid0(VALU_DEP_3) | instskip(SKIP_1) | instid1(VALU_DEP_4)
	v_fma_f64 v[8:9], v[8:9], s[22:23], -v[32:33]
	v_mul_f64_e32 v[32:33], s[12:13], v[66:67]
	v_fma_f64 v[34:35], v[88:89], -0.5, v[34:35]
	s_delay_alu instid0(VALU_DEP_3) | instskip(NEXT) | instid1(VALU_DEP_3)
	v_fma_f64 v[8:9], v[56:57], s[14:15], v[8:9]
	v_fma_f64 v[10:11], v[10:11], s[22:23], -v[32:33]
	v_fma_f64 v[32:33], v[124:125], s[8:9], v[80:81]
	v_add_f64_e64 v[56:57], v[62:63], -v[86:87]
	s_delay_alu instid0(VALU_DEP_4) | instskip(NEXT) | instid1(VALU_DEP_4)
	v_fma_f64 v[0:1], v[0:1], s[18:19], v[8:9]
	v_fma_f64 v[10:11], v[58:59], s[14:15], v[10:11]
	s_delay_alu instid0(VALU_DEP_4) | instskip(SKIP_1) | instid1(VALU_DEP_3)
	v_fma_f64 v[32:33], v[74:75], -0.5, v[32:33]
	v_add_f64_e64 v[58:59], v[68:69], -v[76:77]
	v_fma_f64 v[2:3], v[2:3], s[18:19], v[10:11]
	s_delay_alu instid0(VALU_DEP_3) | instskip(SKIP_1) | instid1(VALU_DEP_2)
	v_fma_f64 v[8:9], v[40:41], s[16:17], v[32:33]
	v_fma_f64 v[10:11], v[42:43], s[16:17], v[34:35]
	v_add_f64_e64 v[32:33], v[8:9], -v[2:3]
	s_delay_alu instid0(VALU_DEP_2) | instskip(SKIP_1) | instid1(VALU_DEP_3)
	v_add_f64_e32 v[34:35], v[0:1], v[10:11]
	v_add_f64_e32 v[8:9], v[60:61], v[84:85]
	v_fma_f64 v[40:41], v[2:3], 2.0, v[32:33]
	s_delay_alu instid0(VALU_DEP_3)
	v_fma_f64 v[42:43], v[0:1], -2.0, v[34:35]
	ds_store_b128 v255, v[32:35] offset:3264
	ds_store_b128 v255, v[40:43] offset:4080
	;; [unrolled: 1-line block ×4, first 2 shown]
	v_add_f64_e32 v[0:1], v[4:5], v[100:101]
	v_add_f64_e32 v[2:3], v[12:13], v[92:93]
	;; [unrolled: 1-line block ×5, first 2 shown]
	v_add_f64_e64 v[4:5], v[4:5], -v[100:101]
	v_add_f64_e64 v[6:7], v[6:7], -v[52:53]
	;; [unrolled: 1-line block ×5, first 2 shown]
	v_add_f64_e32 v[60:61], v[68:69], v[76:77]
	v_add_f64_e64 v[62:63], v[70:71], -v[78:79]
	v_add_f64_e32 v[10:11], v[2:3], v[0:1]
	v_add_f64_e32 v[42:43], v[38:39], v[36:37]
	s_delay_alu instid0(VALU_DEP_3) | instskip(NEXT) | instid1(VALU_DEP_3)
	v_mul_f64_e32 v[66:67], s[22:23], v[62:63]
	v_add_f64_e32 v[16:17], v[8:9], v[10:11]
	v_add_f64_e32 v[10:11], v[60:61], v[10:11]
	s_delay_alu instid0(VALU_DEP_4) | instskip(NEXT) | instid1(VALU_DEP_4)
	v_add_f64_e32 v[18:19], v[40:41], v[42:43]
	v_fma_f64 v[66:67], v[6:7], s[12:13], v[66:67]
	s_delay_alu instid0(VALU_DEP_4) | instskip(SKIP_1) | instid1(VALU_DEP_4)
	v_add_f64_e32 v[16:17], v[68:69], v[16:17]
	v_fma_f64 v[68:69], v[64:65], s[20:21], v[26:27]
	v_add_f64_e32 v[18:19], v[70:71], v[18:19]
	s_delay_alu instid0(VALU_DEP_4) | instskip(NEXT) | instid1(VALU_DEP_4)
	v_fma_f64 v[66:67], v[56:57], s[24:25], v[66:67]
	v_add_f64_e32 v[16:17], v[76:77], v[16:17]
	s_delay_alu instid0(VALU_DEP_4) | instskip(NEXT) | instid1(VALU_DEP_4)
	;; [unrolled: 3-line block ×4, first 2 shown]
	v_fma_f64 v[68:69], v[40:41], -0.5, v[68:69]
	v_add_f64_e32 v[18:19], v[26:27], v[18:19]
	ds_store_b128 v255, v[16:19] offset:7344
	ds_store_b128 v255, v[28:31] offset:6528
	v_mul_f64_e32 v[16:17], s[26:27], v[4:5]
	v_fma_f64 v[18:19], v[0:1], s[20:21], v[24:25]
	v_mul_f64_e32 v[28:29], s[26:27], v[6:7]
	v_fma_f64 v[30:31], v[36:37], s[20:21], v[26:27]
	s_delay_alu instid0(VALU_DEP_4) | instskip(NEXT) | instid1(VALU_DEP_4)
	v_fma_f64 v[16:17], v[12:13], s[12:13], v[16:17]
	v_fma_f64 v[18:19], v[2:3], s[8:9], v[18:19]
	s_delay_alu instid0(VALU_DEP_4) | instskip(NEXT) | instid1(VALU_DEP_4)
	v_fma_f64 v[28:29], v[14:15], s[12:13], v[28:29]
	;; [unrolled: 3-line block ×3, first 2 shown]
	v_fma_f64 v[18:19], v[8:9], -0.5, v[18:19]
	s_delay_alu instid0(VALU_DEP_4) | instskip(NEXT) | instid1(VALU_DEP_4)
	v_fma_f64 v[28:29], v[56:57], s[14:15], v[28:29]
	v_fma_f64 v[30:31], v[40:41], -0.5, v[30:31]
	s_delay_alu instid0(VALU_DEP_4) | instskip(NEXT) | instid1(VALU_DEP_4)
	v_fma_f64 v[34:35], v[58:59], s[18:19], v[16:17]
	v_fma_f64 v[16:17], v[60:61], s[16:17], v[18:19]
	s_delay_alu instid0(VALU_DEP_4) | instskip(NEXT) | instid1(VALU_DEP_4)
	v_fma_f64 v[32:33], v[62:63], s[18:19], v[28:29]
	v_fma_f64 v[18:19], v[64:65], s[16:17], v[30:31]
	v_mul_f64_e32 v[28:29], s[22:23], v[58:59]
	v_fma_f64 v[30:31], v[60:61], s[20:21], v[24:25]
	s_delay_alu instid0(VALU_DEP_4) | instskip(NEXT) | instid1(VALU_DEP_4)
	v_add_f64_e64 v[16:17], v[16:17], -v[32:33]
	v_add_f64_e32 v[18:19], v[34:35], v[18:19]
	s_delay_alu instid0(VALU_DEP_4) | instskip(NEXT) | instid1(VALU_DEP_4)
	v_fma_f64 v[28:29], v[4:5], s[12:13], v[28:29]
	v_fma_f64 v[30:31], v[0:1], s[8:9], v[30:31]
	s_delay_alu instid0(VALU_DEP_4) | instskip(NEXT) | instid1(VALU_DEP_4)
	v_fma_f64 v[32:33], v[32:33], 2.0, v[16:17]
	v_fma_f64 v[34:35], v[34:35], -2.0, v[18:19]
	s_delay_alu instid0(VALU_DEP_4) | instskip(NEXT) | instid1(VALU_DEP_4)
	v_fma_f64 v[28:29], v[52:53], s[24:25], v[28:29]
	v_fma_f64 v[30:31], v[8:9], -0.5, v[30:31]
	s_delay_alu instid0(VALU_DEP_2) | instskip(NEXT) | instid1(VALU_DEP_2)
	v_fma_f64 v[70:71], v[12:13], s[18:19], v[28:29]
	v_fma_f64 v[28:29], v[2:3], s[16:17], v[30:31]
	v_fma_f64 v[30:31], v[38:39], s[16:17], v[68:69]
	v_fma_f64 v[2:3], v[2:3], s[20:21], v[24:25]
	v_add_f64_e32 v[24:25], v[24:25], v[8:9]
	s_delay_alu instid0(VALU_DEP_4) | instskip(NEXT) | instid1(VALU_DEP_4)
	v_add_f64_e64 v[28:29], v[28:29], -v[66:67]
	v_add_f64_e32 v[30:31], v[70:71], v[30:31]
	ds_store_b128 v255, v[16:19] offset:8160
	v_fma_f64 v[10:11], v[10:11], -0.5, v[24:25]
	v_add_f64_e32 v[24:25], v[64:65], v[42:43]
	v_fma_f64 v[2:3], v[60:61], s[8:9], v[2:3]
	v_add_f64_e64 v[42:43], v[110:111], -v[44:45]
	v_fma_f64 v[16:17], v[66:67], 2.0, v[28:29]
	ds_store_b128 v255, v[28:31] offset:8976
	v_fma_f64 v[28:29], v[38:39], s[20:21], v[26:27]
	v_add_f64_e32 v[26:27], v[26:27], v[40:41]
	v_fma_f64 v[18:19], v[70:71], -2.0, v[30:31]
	v_mul_f64_e32 v[30:31], s[12:13], v[62:63]
	v_fma_f64 v[2:3], v[8:9], -0.5, v[2:3]
	s_delay_alu instid0(VALU_DEP_4) | instskip(SKIP_1) | instid1(VALU_DEP_3)
	v_fma_f64 v[26:27], v[24:25], -0.5, v[26:27]
	v_add_f64_e32 v[24:25], v[62:63], v[6:7]
	v_fma_f64 v[0:1], v[0:1], s[16:17], v[2:3]
	s_delay_alu instid0(VALU_DEP_2) | instskip(SKIP_3) | instid1(VALU_DEP_3)
	v_add_f64_e64 v[38:39], v[24:25], -v[14:15]
	v_fma_f64 v[24:25], v[64:65], s[8:9], v[28:29]
	v_mul_f64_e32 v[28:29], s[12:13], v[58:59]
	v_fma_f64 v[14:15], v[14:15], s[22:23], -v[30:31]
	v_fma_f64 v[8:9], v[40:41], -0.5, v[24:25]
	s_delay_alu instid0(VALU_DEP_3) | instskip(NEXT) | instid1(VALU_DEP_3)
	v_fma_f64 v[28:29], v[12:13], s[22:23], -v[28:29]
	v_fma_f64 v[14:15], v[56:57], s[14:15], v[14:15]
	v_add_f64_e32 v[24:25], v[58:59], v[4:5]
	v_add_f64_e64 v[40:41], v[108:109], -v[120:121]
	v_fma_f64 v[2:3], v[36:37], s[16:17], v[8:9]
	v_fma_f64 v[28:29], v[52:53], s[14:15], v[28:29]
	;; [unrolled: 1-line block ×3, first 2 shown]
	v_add_f64_e64 v[12:13], v[24:25], -v[12:13]
	v_fma_f64 v[24:25], v[38:39], s[24:25], v[10:11]
	v_add_f64_e32 v[14:15], v[106:107], v[48:49]
	v_fma_f64 v[4:5], v[4:5], s[18:19], v[28:29]
	v_add_f64_e64 v[28:29], v[0:1], -v[6:7]
	v_fma_f64 v[26:27], v[12:13], s[14:15], v[26:27]
	v_mul_f64_e32 v[0:1], s[14:15], v[38:39]
	s_delay_alu instid0(VALU_DEP_4)
	v_add_f64_e32 v[30:31], v[4:5], v[2:3]
	v_mul_f64_e32 v[2:3], s[14:15], v[12:13]
	ds_store_b128 v255, v[24:27] offset:9792
	v_fma_f64 v[36:37], v[0:1], 2.0, v[24:25]
	v_add_f64_e32 v[0:1], v[54:55], v[50:51]
	v_fma_f64 v[24:25], v[6:7], 2.0, v[28:29]
	v_add_f64_e32 v[6:7], v[108:109], v[120:121]
	v_add_f64_e32 v[12:13], v[102:103], v[122:123]
	v_fma_f64 v[38:39], v[2:3], -2.0, v[26:27]
	v_fma_f64 v[26:27], v[4:5], -2.0, v[30:31]
	v_add_f64_e32 v[4:5], v[104:105], v[46:47]
	ds_store_b128 v255, v[28:31] offset:10608
	ds_store_b128 v255, v[24:27] offset:11424
	;; [unrolled: 1-line block ×5, first 2 shown]
	v_add_f64_e32 v[32:33], v[110:111], v[44:45]
	v_add_f64_e32 v[8:9], v[4:5], v[0:1]
	;; [unrolled: 1-line block ×3, first 2 shown]
	v_add_f64_e64 v[2:3], v[54:55], -v[50:51]
	v_add_f64_e64 v[36:37], v[104:105], -v[46:47]
	v_add_f64_e64 v[38:39], v[106:107], -v[48:49]
	v_fma_f64 v[28:29], v[0:1], s[20:21], v[20:21]
	v_fma_f64 v[30:31], v[12:13], s[20:21], v[22:23]
	v_add_f64_e64 v[44:45], v[112:113], -v[116:117]
	v_add_f64_e32 v[46:47], v[112:113], v[116:117]
	v_add_f64_e64 v[48:49], v[114:115], -v[118:119]
	v_add_f64_e32 v[50:51], v[114:115], v[118:119]
	v_add_f64_e32 v[10:11], v[6:7], v[8:9]
	;; [unrolled: 1-line block ×3, first 2 shown]
	v_mul_f64_e32 v[24:25], s[26:27], v[2:3]
	v_fma_f64 v[28:29], v[4:5], s[8:9], v[28:29]
	v_fma_f64 v[30:31], v[14:15], s[8:9], v[30:31]
	v_add_f64_e32 v[8:9], v[46:47], v[8:9]
	v_add_f64_e32 v[10:11], v[112:113], v[10:11]
	;; [unrolled: 1-line block ×3, first 2 shown]
	v_fma_f64 v[24:25], v[36:37], s[12:13], v[24:25]
	v_fma_f64 v[28:29], v[6:7], -0.5, v[28:29]
	v_fma_f64 v[30:31], v[32:33], -0.5, v[30:31]
	v_add_f64_e32 v[10:11], v[116:117], v[10:11]
	v_add_f64_e32 v[18:19], v[118:119], v[16:17]
	v_fma_f64 v[24:25], v[40:41], s[14:15], v[24:25]
	s_delay_alu instid0(VALU_DEP_3) | instskip(SKIP_1) | instid1(VALU_DEP_3)
	v_add_f64_e32 v[16:17], v[20:21], v[10:11]
	v_add_f64_e64 v[10:11], v[102:103], -v[122:123]
	v_fma_f64 v[52:53], v[44:45], s[18:19], v[24:25]
	v_fma_f64 v[24:25], v[46:47], s[16:17], v[28:29]
	v_add_f64_e32 v[18:19], v[22:23], v[18:19]
	v_fma_f64 v[28:29], v[46:47], s[20:21], v[20:21]
	v_mul_f64_e32 v[26:27], s[26:27], v[10:11]
	s_delay_alu instid0(VALU_DEP_2) | instskip(NEXT) | instid1(VALU_DEP_2)
	v_fma_f64 v[28:29], v[0:1], s[8:9], v[28:29]
	v_fma_f64 v[26:27], v[38:39], s[12:13], v[26:27]
	s_delay_alu instid0(VALU_DEP_2) | instskip(NEXT) | instid1(VALU_DEP_2)
	v_fma_f64 v[28:29], v[6:7], -0.5, v[28:29]
	v_fma_f64 v[26:27], v[42:43], s[14:15], v[26:27]
	s_delay_alu instid0(VALU_DEP_1) | instskip(SKIP_2) | instid1(VALU_DEP_3)
	v_fma_f64 v[54:55], v[48:49], s[18:19], v[26:27]
	v_fma_f64 v[26:27], v[50:51], s[16:17], v[30:31]
	v_fma_f64 v[30:31], v[50:51], s[20:21], v[22:23]
	v_add_f64_e64 v[24:25], v[24:25], -v[54:55]
	s_delay_alu instid0(VALU_DEP_3)
	v_add_f64_e32 v[26:27], v[52:53], v[26:27]
	ds_store_b128 v252, v[16:19] offset:14688
	v_fma_f64 v[30:31], v[12:13], s[8:9], v[30:31]
	v_fma_f64 v[16:17], v[54:55], 2.0, v[24:25]
	ds_store_b128 v252, v[24:27] offset:15504
	v_mul_f64_e32 v[24:25], s[22:23], v[44:45]
	v_fma_f64 v[18:19], v[52:53], -2.0, v[26:27]
	v_mul_f64_e32 v[26:27], s[22:23], v[48:49]
	v_fma_f64 v[30:31], v[32:33], -0.5, v[30:31]
	s_delay_alu instid0(VALU_DEP_4) | instskip(NEXT) | instid1(VALU_DEP_3)
	v_fma_f64 v[24:25], v[2:3], s[12:13], v[24:25]
	v_fma_f64 v[26:27], v[10:11], s[12:13], v[26:27]
	s_delay_alu instid0(VALU_DEP_2) | instskip(NEXT) | instid1(VALU_DEP_2)
	v_fma_f64 v[24:25], v[40:41], s[24:25], v[24:25]
	v_fma_f64 v[26:27], v[42:43], s[24:25], v[26:27]
	s_delay_alu instid0(VALU_DEP_2)
	v_fma_f64 v[52:53], v[36:37], s[18:19], v[24:25]
	v_fma_f64 v[24:25], v[4:5], s[16:17], v[28:29]
	;; [unrolled: 1-line block ×3, first 2 shown]
	v_add_f64_e32 v[20:21], v[20:21], v[6:7]
	v_fma_f64 v[54:55], v[38:39], s[18:19], v[26:27]
	v_fma_f64 v[26:27], v[14:15], s[16:17], v[30:31]
	;; [unrolled: 1-line block ×3, first 2 shown]
	v_add_f64_e32 v[22:23], v[22:23], v[32:33]
	v_fma_f64 v[4:5], v[46:47], s[8:9], v[4:5]
	v_fma_f64 v[8:9], v[8:9], -0.5, v[20:21]
	v_add_f64_e32 v[20:21], v[50:51], v[34:35]
	v_add_f64_e32 v[26:27], v[52:53], v[26:27]
	v_add_f64_e64 v[24:25], v[24:25], -v[54:55]
	v_fma_f64 v[14:15], v[50:51], s[8:9], v[14:15]
	v_fma_f64 v[4:5], v[6:7], -0.5, v[4:5]
	v_fma_f64 v[22:23], v[20:21], -0.5, v[22:23]
	v_add_f64_e32 v[20:21], v[48:49], v[10:11]
	v_fma_f64 v[30:31], v[52:53], -2.0, v[26:27]
	v_fma_f64 v[28:29], v[54:55], 2.0, v[24:25]
	v_fma_f64 v[6:7], v[32:33], -0.5, v[14:15]
	v_fma_f64 v[0:1], v[0:1], s[16:17], v[4:5]
	v_add_f64_e64 v[34:35], v[20:21], -v[38:39]
	v_add_f64_e32 v[20:21], v[44:45], v[2:3]
	s_delay_alu instid0(VALU_DEP_4) | instskip(NEXT) | instid1(VALU_DEP_2)
	v_fma_f64 v[4:5], v[12:13], s[16:17], v[6:7]
	v_add_f64_e64 v[52:53], v[20:21], -v[36:37]
	s_delay_alu instid0(VALU_DEP_4) | instskip(SKIP_1) | instid1(VALU_DEP_3)
	v_fma_f64 v[20:21], v[34:35], s[24:25], v[8:9]
	v_mul_f64_e32 v[8:9], s[14:15], v[34:35]
	v_fma_f64 v[22:23], v[52:53], s[14:15], v[22:23]
	ds_store_b128 v252, v[24:27] offset:16320
	v_fma_f64 v[24:25], v[8:9], 2.0, v[20:21]
	v_mul_f64_e32 v[8:9], s[12:13], v[44:45]
	v_mul_f64_e32 v[26:27], s[14:15], v[52:53]
	ds_store_b128 v252, v[20:23] offset:17136
	v_mul_f64_e32 v[20:21], s[12:13], v[48:49]
	v_fma_f64 v[8:9], v[36:37], s[22:23], -v[8:9]
	v_fma_f64 v[26:27], v[26:27], -2.0, v[22:23]
	s_delay_alu instid0(VALU_DEP_3) | instskip(NEXT) | instid1(VALU_DEP_3)
	v_fma_f64 v[20:21], v[38:39], s[22:23], -v[20:21]
	v_fma_f64 v[8:9], v[40:41], s[14:15], v[8:9]
	s_delay_alu instid0(VALU_DEP_2) | instskip(NEXT) | instid1(VALU_DEP_2)
	v_fma_f64 v[20:21], v[42:43], s[14:15], v[20:21]
	v_fma_f64 v[2:3], v[2:3], s[18:19], v[8:9]
	s_delay_alu instid0(VALU_DEP_2) | instskip(NEXT) | instid1(VALU_DEP_2)
	v_fma_f64 v[8:9], v[10:11], s[18:19], v[20:21]
	v_add_f64_e32 v[22:23], v[2:3], v[4:5]
	s_delay_alu instid0(VALU_DEP_2) | instskip(NEXT) | instid1(VALU_DEP_2)
	v_add_f64_e64 v[20:21], v[0:1], -v[8:9]
	v_fma_f64 v[34:35], v[2:3], -2.0, v[22:23]
	s_delay_alu instid0(VALU_DEP_2)
	v_fma_f64 v[32:33], v[8:9], 2.0, v[20:21]
	ds_store_b128 v252, v[20:23] offset:17952
	ds_store_b128 v252, v[32:35] offset:18768
	;; [unrolled: 1-line block ×5, first 2 shown]
	global_wb scope:SCOPE_SE
	s_wait_dscnt 0x0
	s_barrier_signal -1
	s_barrier_wait -1
	global_inv scope:SCOPE_SE
	ds_load_b128 v[16:19], v255 offset:7344
	ds_load_b128 v[20:23], v255 offset:6528
	scratch_load_b128 v[2:5], off, off offset:596 th:TH_LOAD_LU ; 16-byte Folded Reload
	s_wait_loadcnt_dscnt 0x1
	v_mul_f64_e32 v[0:1], v[4:5], v[18:19]
	s_delay_alu instid0(VALU_DEP_1) | instskip(SKIP_1) | instid1(VALU_DEP_1)
	v_fma_f64 v[8:9], v[2:3], v[16:17], v[0:1]
	v_mul_f64_e32 v[0:1], v[4:5], v[16:17]
	v_fma_f64 v[10:11], v[2:3], v[18:19], -v[0:1]
	ds_load_b128 v[16:19], v255 offset:14688
	ds_load_b128 v[24:27], v255 offset:15504
	scratch_load_b128 v[2:5], off, off offset:612 th:TH_LOAD_LU ; 16-byte Folded Reload
	s_wait_loadcnt_dscnt 0x1
	v_mul_f64_e32 v[0:1], v[4:5], v[18:19]
	s_delay_alu instid0(VALU_DEP_1) | instskip(SKIP_1) | instid1(VALU_DEP_1)
	v_fma_f64 v[12:13], v[2:3], v[16:17], v[0:1]
	v_mul_f64_e32 v[0:1], v[4:5], v[16:17]
	v_fma_f64 v[14:15], v[2:3], v[18:19], -v[0:1]
	;; [unrolled: 9-line block ×3, first 2 shown]
	scratch_load_b128 v[2:5], off, off offset:880 th:TH_LOAD_LU ; 16-byte Folded Reload
	s_wait_loadcnt 0x0
	v_mul_f64_e32 v[0:1], v[4:5], v[26:27]
	s_delay_alu instid0(VALU_DEP_1) | instskip(SKIP_1) | instid1(VALU_DEP_1)
	v_fma_f64 v[36:37], v[2:3], v[24:25], v[0:1]
	v_mul_f64_e32 v[0:1], v[4:5], v[24:25]
	v_fma_f64 v[38:39], v[2:3], v[26:27], -v[0:1]
	scratch_load_b128 v[2:5], off, off offset:944 th:TH_LOAD_LU ; 16-byte Folded Reload
	ds_load_b128 v[16:19], v255 offset:16320
	ds_load_b128 v[24:27], v255 offset:17136
	s_wait_loadcnt_dscnt 0x2
	v_mul_f64_e32 v[0:1], v[4:5], v[30:31]
	s_delay_alu instid0(VALU_DEP_1) | instskip(SKIP_1) | instid1(VALU_DEP_1)
	v_fma_f64 v[40:41], v[2:3], v[28:29], v[0:1]
	v_mul_f64_e32 v[0:1], v[4:5], v[28:29]
	v_fma_f64 v[42:43], v[2:3], v[30:31], -v[0:1]
	scratch_load_b128 v[2:5], off, off offset:912 th:TH_LOAD_LU ; 16-byte Folded Reload
	s_wait_loadcnt_dscnt 0x1
	v_mul_f64_e32 v[0:1], v[4:5], v[18:19]
	s_delay_alu instid0(VALU_DEP_1) | instskip(SKIP_1) | instid1(VALU_DEP_1)
	v_fma_f64 v[44:45], v[2:3], v[16:17], v[0:1]
	v_mul_f64_e32 v[0:1], v[4:5], v[16:17]
	v_fma_f64 v[46:47], v[2:3], v[18:19], -v[0:1]
	ds_load_b128 v[16:19], v255 offset:9792
	ds_load_b128 v[28:31], v255 offset:10608
	scratch_load_b128 v[2:5], off, off offset:960 th:TH_LOAD_LU ; 16-byte Folded Reload
	s_wait_loadcnt_dscnt 0x1
	v_mul_f64_e32 v[0:1], v[4:5], v[18:19]
	s_delay_alu instid0(VALU_DEP_1) | instskip(SKIP_1) | instid1(VALU_DEP_1)
	v_fma_f64 v[48:49], v[2:3], v[16:17], v[0:1]
	v_mul_f64_e32 v[0:1], v[4:5], v[16:17]
	v_fma_f64 v[50:51], v[2:3], v[18:19], -v[0:1]
	scratch_load_b128 v[2:5], off, off offset:928 th:TH_LOAD_LU ; 16-byte Folded Reload
	s_wait_loadcnt 0x0
	v_mul_f64_e32 v[0:1], v[4:5], v[26:27]
	s_delay_alu instid0(VALU_DEP_1) | instskip(SKIP_1) | instid1(VALU_DEP_1)
	v_fma_f64 v[52:53], v[2:3], v[24:25], v[0:1]
	v_mul_f64_e32 v[0:1], v[4:5], v[24:25]
	v_fma_f64 v[54:55], v[2:3], v[26:27], -v[0:1]
	scratch_load_b128 v[2:5], off, off offset:1008 th:TH_LOAD_LU ; 16-byte Folded Reload
	ds_load_b128 v[16:19], v255 offset:17952
	ds_load_b128 v[24:27], v255 offset:18768
	s_wait_loadcnt_dscnt 0x2
	v_mul_f64_e32 v[0:1], v[4:5], v[30:31]
	s_delay_alu instid0(VALU_DEP_1) | instskip(SKIP_1) | instid1(VALU_DEP_1)
	v_fma_f64 v[60:61], v[2:3], v[28:29], v[0:1]
	v_mul_f64_e32 v[0:1], v[4:5], v[28:29]
	v_fma_f64 v[62:63], v[2:3], v[30:31], -v[0:1]
	scratch_load_b128 v[2:5], off, off offset:976 th:TH_LOAD_LU ; 16-byte Folded Reload
	s_wait_loadcnt_dscnt 0x1
	v_mul_f64_e32 v[0:1], v[4:5], v[18:19]
	s_delay_alu instid0(VALU_DEP_1) | instskip(SKIP_1) | instid1(VALU_DEP_2)
	v_fma_f64 v[64:65], v[2:3], v[16:17], v[0:1]
	v_mul_f64_e32 v[0:1], v[4:5], v[16:17]
	v_add_f64_e32 v[76:77], v[60:61], v[64:65]
	s_delay_alu instid0(VALU_DEP_2)
	v_fma_f64 v[66:67], v[2:3], v[18:19], -v[0:1]
	ds_load_b128 v[16:19], v255 offset:11424
	ds_load_b128 v[28:31], v255 offset:12240
	scratch_load_b128 v[2:5], off, off offset:1024 th:TH_LOAD_LU ; 16-byte Folded Reload
	v_add_f64_e32 v[78:79], v[62:63], v[66:67]
	s_wait_loadcnt_dscnt 0x1
	v_mul_f64_e32 v[0:1], v[4:5], v[18:19]
	s_delay_alu instid0(VALU_DEP_1) | instskip(SKIP_1) | instid1(VALU_DEP_1)
	v_fma_f64 v[68:69], v[2:3], v[16:17], v[0:1]
	v_mul_f64_e32 v[0:1], v[4:5], v[16:17]
	v_fma_f64 v[70:71], v[2:3], v[18:19], -v[0:1]
	scratch_load_b128 v[2:5], off, off offset:992 th:TH_LOAD_LU ; 16-byte Folded Reload
	s_wait_loadcnt 0x0
	v_mul_f64_e32 v[0:1], v[4:5], v[26:27]
	s_delay_alu instid0(VALU_DEP_1) | instskip(SKIP_1) | instid1(VALU_DEP_1)
	v_fma_f64 v[72:73], v[2:3], v[24:25], v[0:1]
	v_mul_f64_e32 v[0:1], v[4:5], v[24:25]
	v_fma_f64 v[74:75], v[2:3], v[26:27], -v[0:1]
	scratch_load_b128 v[2:5], off, off offset:1072 th:TH_LOAD_LU ; 16-byte Folded Reload
	s_wait_loadcnt_dscnt 0x0
	v_mul_f64_e32 v[0:1], v[4:5], v[30:31]
	s_delay_alu instid0(VALU_DEP_1) | instskip(SKIP_1) | instid1(VALU_DEP_1)
	v_fma_f64 v[84:85], v[2:3], v[28:29], v[0:1]
	v_mul_f64_e32 v[0:1], v[4:5], v[28:29]
	v_fma_f64 v[86:87], v[2:3], v[30:31], -v[0:1]
	ds_load_b128 v[0:3], v255 offset:19584
	ds_load_b128 v[16:19], v255 offset:20400
	scratch_load_b128 v[24:27], off, off offset:1040 th:TH_LOAD_LU ; 16-byte Folded Reload
	s_wait_loadcnt_dscnt 0x1
	v_mul_f64_e32 v[4:5], v[26:27], v[2:3]
	s_delay_alu instid0(VALU_DEP_1) | instskip(SKIP_1) | instid1(VALU_DEP_2)
	v_fma_f64 v[88:89], v[24:25], v[0:1], v[4:5]
	v_mul_f64_e32 v[0:1], v[26:27], v[0:1]
	v_add_f64_e32 v[108:109], v[84:85], v[88:89]
	s_delay_alu instid0(VALU_DEP_2)
	v_fma_f64 v[90:91], v[24:25], v[2:3], -v[0:1]
	ds_load_b128 v[0:3], v255 offset:13056
	ds_load_b128 v[24:27], v255 offset:13872
	scratch_load_b128 v[28:31], off, off offset:1088 th:TH_LOAD_LU ; 16-byte Folded Reload
	v_add_f64_e32 v[110:111], v[86:87], v[90:91]
	s_wait_loadcnt_dscnt 0x1
	v_mul_f64_e32 v[4:5], v[30:31], v[2:3]
	s_delay_alu instid0(VALU_DEP_1) | instskip(SKIP_1) | instid1(VALU_DEP_1)
	v_fma_f64 v[92:93], v[28:29], v[0:1], v[4:5]
	v_mul_f64_e32 v[0:1], v[30:31], v[0:1]
	v_fma_f64 v[94:95], v[28:29], v[2:3], -v[0:1]
	scratch_load_b128 v[2:5], off, off offset:1056 th:TH_LOAD_LU ; 16-byte Folded Reload
	v_add_f64_e64 v[28:29], v[32:33], -v[36:37]
	s_wait_loadcnt 0x0
	v_mul_f64_e32 v[0:1], v[4:5], v[18:19]
	s_delay_alu instid0(VALU_DEP_1) | instskip(SKIP_1) | instid1(VALU_DEP_1)
	v_fma_f64 v[96:97], v[2:3], v[16:17], v[0:1]
	v_mul_f64_e32 v[0:1], v[4:5], v[16:17]
	v_fma_f64 v[98:99], v[2:3], v[18:19], -v[0:1]
	s_clause 0x1
	scratch_load_b128 v[2:5], off, off offset:1120 th:TH_LOAD_LU
	scratch_load_b128 v[16:19], off, off offset:1104 th:TH_LOAD_LU
	s_wait_loadcnt_dscnt 0x100
	v_mul_f64_e32 v[0:1], v[4:5], v[26:27]
	s_delay_alu instid0(VALU_DEP_1) | instskip(SKIP_2) | instid1(VALU_DEP_2)
	v_fma_f64 v[100:101], v[2:3], v[24:25], v[0:1]
	v_mul_f64_e32 v[0:1], v[4:5], v[24:25]
	v_add_f64_e64 v[24:25], v[34:35], -v[38:39]
	v_fma_f64 v[102:103], v[2:3], v[26:27], -v[0:1]
	ds_load_b128 v[0:3], v255 offset:21216
	s_wait_loadcnt_dscnt 0x0
	v_mul_f64_e32 v[4:5], v[18:19], v[2:3]
	s_delay_alu instid0(VALU_DEP_1) | instskip(SKIP_2) | instid1(VALU_DEP_2)
	v_fma_f64 v[104:105], v[16:17], v[0:1], v[4:5]
	v_mul_f64_e32 v[0:1], v[18:19], v[0:1]
	v_add_f64_e32 v[18:19], v[10:11], v[14:15]
	v_fma_f64 v[106:107], v[16:17], v[2:3], -v[0:1]
	v_add_f64_e32 v[16:17], v[8:9], v[12:13]
	ds_load_b128 v[0:3], v255
	ds_load_b128 v[4:7], v255 offset:816
	s_wait_dscnt 0x1
	v_fma_f64 v[18:19], v[18:19], -0.5, v[2:3]
	v_add_f64_e32 v[2:3], v[2:3], v[10:11]
	v_add_f64_e64 v[10:11], v[10:11], -v[14:15]
	v_fma_f64 v[16:17], v[16:17], -0.5, v[0:1]
	v_add_f64_e32 v[0:1], v[0:1], v[8:9]
	s_delay_alu instid0(VALU_DEP_4) | instskip(SKIP_1) | instid1(VALU_DEP_4)
	v_add_f64_e32 v[2:3], v[2:3], v[14:15]
	v_add_f64_e64 v[14:15], v[8:9], -v[12:13]
	v_fma_f64 v[8:9], v[10:11], s[0:1], v[16:17]
	s_delay_alu instid0(VALU_DEP_4)
	v_add_f64_e32 v[0:1], v[0:1], v[12:13]
	v_fma_f64 v[12:13], v[10:11], s[2:3], v[16:17]
	v_add_f64_e32 v[16:17], v[32:33], v[36:37]
	v_fma_f64 v[10:11], v[14:15], s[2:3], v[18:19]
	v_fma_f64 v[14:15], v[14:15], s[0:1], v[18:19]
	s_wait_dscnt 0x0
	s_delay_alu instid0(VALU_DEP_3) | instskip(SKIP_2) | instid1(VALU_DEP_2)
	v_fma_f64 v[18:19], v[16:17], -0.5, v[4:5]
	v_add_f64_e32 v[16:17], v[34:35], v[38:39]
	v_add_f64_e32 v[4:5], v[4:5], v[32:33]
	v_fma_f64 v[26:27], v[16:17], -0.5, v[6:7]
	v_add_f64_e32 v[6:7], v[6:7], v[34:35]
	s_delay_alu instid0(VALU_DEP_3)
	v_add_f64_e32 v[4:5], v[4:5], v[36:37]
	v_add_f64_e32 v[36:37], v[40:41], v[44:45]
	v_fma_f64 v[16:17], v[24:25], s[0:1], v[18:19]
	v_fma_f64 v[24:25], v[24:25], s[2:3], v[18:19]
	;; [unrolled: 1-line block ×4, first 2 shown]
	ds_load_b128 v[28:31], v255 offset:1632
	ds_load_b128 v[32:35], v255 offset:2448
	v_add_f64_e32 v[6:7], v[6:7], v[38:39]
	s_wait_dscnt 0x1
	v_fma_f64 v[38:39], v[36:37], -0.5, v[28:29]
	v_add_f64_e32 v[36:37], v[42:43], v[46:47]
	v_add_f64_e32 v[28:29], v[28:29], v[40:41]
	s_delay_alu instid0(VALU_DEP_2) | instskip(SKIP_2) | instid1(VALU_DEP_4)
	v_fma_f64 v[56:57], v[36:37], -0.5, v[30:31]
	v_add_f64_e32 v[30:31], v[30:31], v[42:43]
	v_add_f64_e64 v[42:43], v[42:43], -v[46:47]
	v_add_f64_e32 v[28:29], v[28:29], v[44:45]
	v_add_f64_e64 v[44:45], v[40:41], -v[44:45]
	s_delay_alu instid0(VALU_DEP_4) | instskip(NEXT) | instid1(VALU_DEP_4)
	v_add_f64_e32 v[30:31], v[30:31], v[46:47]
	v_fma_f64 v[36:37], v[42:43], s[0:1], v[38:39]
	v_fma_f64 v[40:41], v[42:43], s[2:3], v[38:39]
	s_delay_alu instid0(VALU_DEP_4) | instskip(SKIP_3) | instid1(VALU_DEP_1)
	v_fma_f64 v[38:39], v[44:45], s[2:3], v[56:57]
	v_fma_f64 v[42:43], v[44:45], s[0:1], v[56:57]
	v_add_f64_e32 v[44:45], v[48:49], v[52:53]
	s_wait_dscnt 0x0
	v_fma_f64 v[46:47], v[44:45], -0.5, v[32:33]
	v_add_f64_e32 v[44:45], v[50:51], v[54:55]
	v_add_f64_e32 v[32:33], v[32:33], v[48:49]
	s_delay_alu instid0(VALU_DEP_2) | instskip(SKIP_2) | instid1(VALU_DEP_4)
	v_fma_f64 v[56:57], v[44:45], -0.5, v[34:35]
	v_add_f64_e32 v[34:35], v[34:35], v[50:51]
	v_add_f64_e64 v[50:51], v[50:51], -v[54:55]
	v_add_f64_e32 v[32:33], v[32:33], v[52:53]
	v_add_f64_e64 v[52:53], v[48:49], -v[52:53]
	s_delay_alu instid0(VALU_DEP_4) | instskip(NEXT) | instid1(VALU_DEP_4)
	v_add_f64_e32 v[34:35], v[34:35], v[54:55]
	v_fma_f64 v[44:45], v[50:51], s[0:1], v[46:47]
	v_fma_f64 v[48:49], v[50:51], s[2:3], v[46:47]
	s_delay_alu instid0(VALU_DEP_4)
	v_fma_f64 v[46:47], v[52:53], s[2:3], v[56:57]
	v_fma_f64 v[50:51], v[52:53], s[0:1], v[56:57]
	ds_load_b128 v[52:55], v255 offset:3264
	ds_load_b128 v[56:59], v255 offset:4080
	s_wait_dscnt 0x1
	v_fma_f64 v[78:79], v[78:79], -0.5, v[54:55]
	v_add_f64_e32 v[54:55], v[54:55], v[62:63]
	v_fma_f64 v[76:77], v[76:77], -0.5, v[52:53]
	v_add_f64_e32 v[52:53], v[52:53], v[60:61]
	v_add_f64_e64 v[62:63], v[62:63], -v[66:67]
	s_delay_alu instid0(VALU_DEP_4) | instskip(SKIP_1) | instid1(VALU_DEP_4)
	v_add_f64_e32 v[54:55], v[54:55], v[66:67]
	v_add_f64_e64 v[66:67], v[60:61], -v[64:65]
	v_add_f64_e32 v[52:53], v[52:53], v[64:65]
	s_delay_alu instid0(VALU_DEP_4)
	v_fma_f64 v[60:61], v[62:63], s[0:1], v[76:77]
	v_fma_f64 v[64:65], v[62:63], s[2:3], v[76:77]
	v_add_f64_e32 v[76:77], v[68:69], v[72:73]
	v_fma_f64 v[62:63], v[66:67], s[2:3], v[78:79]
	v_fma_f64 v[66:67], v[66:67], s[0:1], v[78:79]
	v_add_f64_e32 v[78:79], v[70:71], v[74:75]
	s_wait_dscnt 0x0
	s_delay_alu instid0(VALU_DEP_4) | instskip(SKIP_1) | instid1(VALU_DEP_3)
	v_fma_f64 v[76:77], v[76:77], -0.5, v[56:57]
	v_add_f64_e32 v[56:57], v[56:57], v[68:69]
	v_fma_f64 v[78:79], v[78:79], -0.5, v[58:59]
	v_add_f64_e32 v[58:59], v[58:59], v[70:71]
	v_add_f64_e64 v[70:71], v[70:71], -v[74:75]
	s_delay_alu instid0(VALU_DEP_4) | instskip(NEXT) | instid1(VALU_DEP_3)
	v_add_f64_e32 v[56:57], v[56:57], v[72:73]
	v_add_f64_e32 v[58:59], v[58:59], v[74:75]
	v_add_f64_e64 v[74:75], v[68:69], -v[72:73]
	s_delay_alu instid0(VALU_DEP_4) | instskip(SKIP_1) | instid1(VALU_DEP_3)
	v_fma_f64 v[68:69], v[70:71], s[0:1], v[76:77]
	v_fma_f64 v[72:73], v[70:71], s[2:3], v[76:77]
	;; [unrolled: 1-line block ×4, first 2 shown]
	ds_load_b128 v[76:79], v255 offset:4896
	ds_load_b128 v[80:83], v255 offset:5712
	s_wait_dscnt 0x1
	v_fma_f64 v[110:111], v[110:111], -0.5, v[78:79]
	v_add_f64_e32 v[78:79], v[78:79], v[86:87]
	v_fma_f64 v[108:109], v[108:109], -0.5, v[76:77]
	v_add_f64_e32 v[76:77], v[76:77], v[84:85]
	v_add_f64_e64 v[86:87], v[86:87], -v[90:91]
	s_delay_alu instid0(VALU_DEP_4) | instskip(SKIP_1) | instid1(VALU_DEP_4)
	v_add_f64_e32 v[78:79], v[78:79], v[90:91]
	v_add_f64_e64 v[90:91], v[84:85], -v[88:89]
	v_add_f64_e32 v[76:77], v[76:77], v[88:89]
	s_delay_alu instid0(VALU_DEP_4)
	v_fma_f64 v[84:85], v[86:87], s[0:1], v[108:109]
	v_fma_f64 v[88:89], v[86:87], s[2:3], v[108:109]
	v_add_f64_e32 v[108:109], v[92:93], v[96:97]
	v_fma_f64 v[86:87], v[90:91], s[2:3], v[110:111]
	v_fma_f64 v[90:91], v[90:91], s[0:1], v[110:111]
	v_add_f64_e32 v[110:111], v[94:95], v[98:99]
	s_wait_dscnt 0x0
	s_delay_alu instid0(VALU_DEP_4) | instskip(SKIP_1) | instid1(VALU_DEP_3)
	v_fma_f64 v[108:109], v[108:109], -0.5, v[80:81]
	v_add_f64_e32 v[80:81], v[80:81], v[92:93]
	v_fma_f64 v[110:111], v[110:111], -0.5, v[82:83]
	v_add_f64_e32 v[82:83], v[82:83], v[94:95]
	v_add_f64_e64 v[94:95], v[94:95], -v[98:99]
	s_delay_alu instid0(VALU_DEP_4) | instskip(NEXT) | instid1(VALU_DEP_3)
	v_add_f64_e32 v[80:81], v[80:81], v[96:97]
	v_add_f64_e32 v[82:83], v[82:83], v[98:99]
	v_add_f64_e64 v[98:99], v[92:93], -v[96:97]
	s_delay_alu instid0(VALU_DEP_4) | instskip(SKIP_2) | instid1(VALU_DEP_4)
	v_fma_f64 v[92:93], v[94:95], s[0:1], v[108:109]
	v_fma_f64 v[96:97], v[94:95], s[2:3], v[108:109]
	v_add_f64_e32 v[108:109], v[100:101], v[104:105]
	v_fma_f64 v[94:95], v[98:99], s[2:3], v[110:111]
	v_fma_f64 v[98:99], v[98:99], s[0:1], v[110:111]
	v_add_f64_e32 v[110:111], v[102:103], v[106:107]
	s_delay_alu instid0(VALU_DEP_4) | instskip(SKIP_1) | instid1(VALU_DEP_3)
	v_fma_f64 v[108:109], v[108:109], -0.5, v[20:21]
	v_add_f64_e32 v[20:21], v[20:21], v[100:101]
	v_fma_f64 v[110:111], v[110:111], -0.5, v[22:23]
	v_add_f64_e32 v[22:23], v[22:23], v[102:103]
	v_add_f64_e64 v[102:103], v[102:103], -v[106:107]
	s_delay_alu instid0(VALU_DEP_4) | instskip(NEXT) | instid1(VALU_DEP_3)
	v_add_f64_e32 v[20:21], v[20:21], v[104:105]
	v_add_f64_e32 v[22:23], v[22:23], v[106:107]
	v_add_f64_e64 v[106:107], v[100:101], -v[104:105]
	s_delay_alu instid0(VALU_DEP_4) | instskip(SKIP_1) | instid1(VALU_DEP_3)
	v_fma_f64 v[100:101], v[102:103], s[0:1], v[108:109]
	v_fma_f64 v[104:105], v[102:103], s[2:3], v[108:109]
	;; [unrolled: 1-line block ×4, first 2 shown]
	ds_store_b128 v255, v[0:3]
	ds_store_b128 v255, v[4:7] offset:816
	ds_store_b128 v255, v[12:15] offset:14688
	;; [unrolled: 1-line block ×26, first 2 shown]
	global_wb scope:SCOPE_SE
	s_wait_dscnt 0x0
	s_barrier_signal -1
	s_barrier_wait -1
	global_inv scope:SCOPE_SE
	ds_load_b128 v[0:3], v255
	ds_load_b128 v[4:7], v255 offset:1296
	scratch_load_b128 v[36:39], off, off offset:308 th:TH_LOAD_LU ; 16-byte Folded Reload
	s_mov_b32 s2, 0xdee863a6
	s_mov_b32 s3, 0x3f47cbf1
	s_wait_loadcnt_dscnt 0x1
	v_mul_f64_e32 v[24:25], v[38:39], v[2:3]
	v_mul_f64_e32 v[26:27], v[38:39], v[0:1]
	scratch_load_b128 v[38:41], off, off offset:340 th:TH_LOAD_LU ; 16-byte Folded Reload
	ds_load_b128 v[8:11], v255 offset:2592
	ds_load_b128 v[12:15], v255 offset:3888
	scratch_load_b128 v[63:66], off, off offset:324 th:TH_LOAD_LU ; 16-byte Folded Reload
	ds_load_b128 v[16:19], v255 offset:5184
	ds_load_b128 v[20:23], v255 offset:6480
	s_clause 0x6
	scratch_load_b128 v[55:58], off, off offset:292 th:TH_LOAD_LU
	scratch_load_b128 v[59:62], off, off offset:276 th:TH_LOAD_LU
	scratch_load_b32 v53, off, off th:TH_LOAD_LU
	scratch_load_b128 v[81:84], off, off offset:124 th:TH_LOAD_LU
	scratch_load_b128 v[85:88], off, off offset:140 th:TH_LOAD_LU
	scratch_load_b128 v[67:70], off, off offset:196 th:TH_LOAD_LU
	scratch_load_b128 v[103:106], off, off offset:372 th:TH_LOAD_LU
	v_fma_f64 v[24:25], v[36:37], v[0:1], v[24:25]
	scratch_load_b64 v[0:1], off, off offset:188 th:TH_LOAD_LU ; 8-byte Folded Reload
	v_fma_f64 v[26:27], v[36:37], v[2:3], -v[26:27]
	s_wait_alu 0xfffe
	v_mul_f64_e32 v[24:25], s[2:3], v[24:25]
	s_delay_alu instid0(VALU_DEP_2)
	v_mul_f64_e32 v[26:27], s[2:3], v[26:27]
	s_wait_loadcnt_dscnt 0x904
	v_mul_f64_e32 v[28:29], v[40:41], v[6:7]
	v_mul_f64_e32 v[30:31], v[40:41], v[4:5]
	s_wait_loadcnt_dscnt 0x803
	v_mul_f64_e32 v[32:33], v[65:66], v[10:11]
	;; [unrolled: 3-line block ×3, first 2 shown]
	s_wait_loadcnt_dscnt 0x601
	v_mul_f64_e32 v[40:41], v[61:62], v[18:19]
	v_mul_f64_e32 v[42:43], v[61:62], v[16:17]
	s_wait_loadcnt 0x5
	v_mad_co_u64_u32 v[50:51], null, s4, v53, 0
	s_wait_loadcnt 0x0
	v_mov_b32_e32 v52, v0
	v_fma_f64 v[28:29], v[38:39], v[4:5], v[28:29]
	v_fma_f64 v[30:31], v[38:39], v[6:7], -v[30:31]
	ds_load_b128 v[0:3], v255 offset:7776
	ds_load_b128 v[4:7], v255 offset:9072
	v_mul_f64_e32 v[38:39], v[57:58], v[12:13]
	v_fma_f64 v[57:58], v[59:60], v[16:17], v[40:41]
	v_fma_f64 v[59:60], v[59:60], v[18:19], -v[42:43]
	v_mad_co_u64_u32 v[44:45], null, s6, v52, 0
	v_fma_f64 v[32:33], v[63:64], v[8:9], v[32:33]
	v_fma_f64 v[34:35], v[63:64], v[10:11], -v[34:35]
	ds_load_b128 v[16:19], v255 offset:12960
	v_dual_mov_b32 v8, v45 :: v_dual_mov_b32 v45, v51
	s_delay_alu instid0(VALU_DEP_1)
	v_mad_co_u64_u32 v[51:52], null, s7, v52, v[8:9]
	ds_load_b128 v[8:11], v255 offset:10368
	s_wait_dscnt 0x2
	v_mul_f64_e32 v[40:41], v[87:88], v[6:7]
	v_mul_f64_e32 v[42:43], v[87:88], v[4:5]
	scratch_load_b128 v[87:90], off, off offset:156 th:TH_LOAD_LU ; 16-byte Folded Reload
	v_mul_f64_e32 v[46:47], v[69:70], v[22:23]
	v_mul_f64_e32 v[48:49], v[69:70], v[20:21]
	s_mul_u64 s[6:7], s[4:5], 0x51
	s_wait_alu 0xfffe
	s_lshl_b64 s[6:7], s[6:7], 4
	v_mul_f64_e32 v[28:29], s[2:3], v[28:29]
	v_mul_f64_e32 v[30:31], s[2:3], v[30:31]
	s_delay_alu instid0(VALU_DEP_4)
	v_mad_co_u64_u32 v[52:53], null, s5, v53, v[45:46]
	v_fma_f64 v[53:54], v[55:56], v[12:13], v[36:37]
	v_fma_f64 v[55:56], v[55:56], v[14:15], -v[38:39]
	ds_load_b128 v[12:15], v255 offset:11664
	v_mul_f64_e32 v[36:37], v[83:84], v[2:3]
	v_mul_f64_e32 v[38:39], v[83:84], v[0:1]
	v_mov_b32_e32 v45, v51
	v_mov_b32_e32 v51, v52
	v_fma_f64 v[65:66], v[67:68], v[20:21], v[46:47]
	v_fma_f64 v[67:68], v[67:68], v[22:23], -v[48:49]
	v_fma_f64 v[83:84], v[85:86], v[4:5], v[40:41]
	v_lshlrev_b64_e32 v[44:45], 4, v[44:45]
	v_lshlrev_b64_e32 v[20:21], 4, v[50:51]
	v_fma_f64 v[85:86], v[85:86], v[6:7], -v[42:43]
	ds_load_b128 v[4:7], v255 offset:19440
	v_mul_f64_e32 v[46:47], s[2:3], v[59:60]
	v_add_co_u32 v22, s0, s10, v44
	s_wait_alu 0xf1ff
	v_add_co_ci_u32_e64 v23, s0, s11, v45, s0
	s_delay_alu instid0(VALU_DEP_2) | instskip(SKIP_1) | instid1(VALU_DEP_2)
	v_add_co_u32 v44, s0, v22, v20
	s_wait_alu 0xf1ff
	v_add_co_ci_u32_e64 v45, s0, v23, v21, s0
	ds_load_b128 v[20:23], v255 offset:14256
	s_wait_alu 0xfffe
	v_add_co_u32 v77, s0, v44, s6
	global_store_b128 v[44:45], v[24:27], off
	s_wait_alu 0xf1ff
	v_add_co_ci_u32_e64 v78, s0, s7, v45, s0
	v_mul_f64_e32 v[44:45], s[2:3], v[57:58]
	v_mul_f64_e32 v[24:25], s[2:3], v[32:33]
	;; [unrolled: 1-line block ×3, first 2 shown]
	ds_load_b128 v[32:35], v255 offset:15552
	global_store_b128 v[77:78], v[28:31], off
	v_add_co_u32 v28, s0, v77, s6
	v_mul_f64_e32 v[40:41], s[2:3], v[53:54]
	v_mul_f64_e32 v[42:43], s[2:3], v[55:56]
	s_wait_alu 0xf1ff
	v_add_co_ci_u32_e64 v29, s0, s7, v78, s0
	v_fma_f64 v[79:80], v[81:82], v[0:1], v[36:37]
	v_fma_f64 v[81:82], v[81:82], v[2:3], -v[38:39]
	ds_load_b128 v[0:3], v255 offset:16848
	ds_load_b128 v[36:39], v255 offset:18144
	v_mul_f64_e32 v[48:49], s[2:3], v[65:66]
	v_mul_f64_e32 v[50:51], s[2:3], v[67:68]
	v_add_co_u32 v30, s0, v28, s6
	s_wait_alu 0xf1ff
	v_add_co_ci_u32_e64 v31, s0, s7, v29, s0
	s_delay_alu instid0(VALU_DEP_2) | instskip(SKIP_1) | instid1(VALU_DEP_2)
	v_add_co_u32 v77, s0, v30, s6
	s_wait_alu 0xf1ff
	v_add_co_ci_u32_e64 v78, s0, s7, v31, s0
	global_store_b128 v[28:29], v[24:27], off
	v_add_co_u32 v24, s0, v77, s6
	s_wait_alu 0xf1ff
	v_add_co_ci_u32_e64 v25, s0, s7, v78, s0
	s_wait_loadcnt_dscnt 0x6
	v_mul_f64_e32 v[61:62], v[89:90], v[10:11]
	v_mul_f64_e32 v[63:64], v[89:90], v[8:9]
	scratch_load_b128 v[89:92], off, off offset:172 th:TH_LOAD_LU ; 16-byte Folded Reload
	v_fma_f64 v[52:53], v[87:88], v[8:9], v[61:62]
	v_fma_f64 v[61:62], v[87:88], v[10:11], -v[63:64]
	ds_load_b128 v[8:11], v255 offset:20736
	s_wait_loadcnt_dscnt 0x6
	v_mul_f64_e32 v[69:70], v[91:92], v[14:15]
	v_mul_f64_e32 v[71:72], v[91:92], v[12:13]
	scratch_load_b128 v[91:94], off, off offset:212 th:TH_LOAD_LU ; 16-byte Folded Reload
	v_fma_f64 v[12:13], v[89:90], v[12:13], v[69:70]
	v_fma_f64 v[14:15], v[89:90], v[14:15], -v[71:72]
	s_wait_dscnt 0x1
	v_mul_f64_e32 v[69:70], v[105:106], v[38:39]
	v_mul_f64_e32 v[71:72], v[105:106], v[36:37]
	scratch_load_b128 v[105:108], off, off offset:388 th:TH_LOAD_LU ; 16-byte Folded Reload
	v_mul_f64_e32 v[12:13], s[2:3], v[12:13]
	v_mul_f64_e32 v[14:15], s[2:3], v[14:15]
	s_wait_loadcnt 0x1
	v_mul_f64_e32 v[73:74], v[93:94], v[18:19]
	v_mul_f64_e32 v[75:76], v[93:94], v[16:17]
	scratch_load_b128 v[93:96], off, off offset:228 th:TH_LOAD_LU ; 16-byte Folded Reload
	v_fma_f64 v[16:17], v[91:92], v[16:17], v[73:74]
	v_fma_f64 v[18:19], v[91:92], v[18:19], -v[75:76]
	s_wait_loadcnt_dscnt 0x100
	v_mul_f64_e32 v[87:88], v[107:108], v[10:11]
	v_mul_f64_e32 v[89:90], v[107:108], v[8:9]
	s_delay_alu instid0(VALU_DEP_4) | instskip(NEXT) | instid1(VALU_DEP_4)
	v_mul_f64_e32 v[16:17], s[2:3], v[16:17]
	v_mul_f64_e32 v[18:19], s[2:3], v[18:19]
	s_wait_loadcnt 0x0
	v_mul_f64_e32 v[54:55], v[95:96], v[22:23]
	v_mul_f64_e32 v[56:57], v[95:96], v[20:21]
	scratch_load_b128 v[95:98], off, off offset:244 th:TH_LOAD_LU ; 16-byte Folded Reload
	v_fma_f64 v[20:21], v[93:94], v[20:21], v[54:55]
	v_fma_f64 v[22:23], v[93:94], v[22:23], -v[56:57]
	s_delay_alu instid0(VALU_DEP_2) | instskip(NEXT) | instid1(VALU_DEP_2)
	v_mul_f64_e32 v[20:21], s[2:3], v[20:21]
	v_mul_f64_e32 v[22:23], s[2:3], v[22:23]
	s_wait_loadcnt 0x0
	v_mul_f64_e32 v[58:59], v[97:98], v[34:35]
	v_mul_f64_e32 v[63:64], v[97:98], v[32:33]
	scratch_load_b128 v[97:100], off, off offset:260 th:TH_LOAD_LU ; 16-byte Folded Reload
	v_fma_f64 v[26:27], v[95:96], v[32:33], v[58:59]
	v_fma_f64 v[28:29], v[95:96], v[34:35], -v[63:64]
	v_fma_f64 v[34:35], v[103:104], v[36:37], v[69:70]
	v_fma_f64 v[36:37], v[103:104], v[38:39], -v[71:72]
	s_wait_loadcnt 0x0
	v_mul_f64_e32 v[65:66], v[99:100], v[2:3]
	v_mul_f64_e32 v[67:68], v[99:100], v[0:1]
	scratch_load_b128 v[99:102], off, off offset:356 th:TH_LOAD_LU ; 16-byte Folded Reload
	s_clause 0x1
	global_store_b128 v[30:31], v[40:43], off
	global_store_b128 v[77:78], v[44:47], off
	;; [unrolled: 1-line block ×3, first 2 shown]
	v_fma_f64 v[42:43], v[105:106], v[8:9], v[87:88]
	v_fma_f64 v[44:45], v[105:106], v[10:11], -v[89:90]
	v_add_co_u32 v46, s0, v24, s6
	s_wait_alu 0xf1ff
	v_add_co_ci_u32_e64 v47, s0, s7, v25, s0
	v_mul_f64_e32 v[8:9], s[2:3], v[52:53]
	s_delay_alu instid0(VALU_DEP_3) | instskip(SKIP_1) | instid1(VALU_DEP_3)
	v_add_co_u32 v48, s0, v46, s6
	s_wait_alu 0xf1ff
	v_add_co_ci_u32_e64 v49, s0, s7, v47, s0
	v_mul_f64_e32 v[10:11], s[2:3], v[61:62]
	s_delay_alu instid0(VALU_DEP_3) | instskip(SKIP_1) | instid1(VALU_DEP_3)
	;; [unrolled: 5-line block ×3, first 2 shown]
	v_add_co_u32 v52, s0, v50, s6
	s_wait_alu 0xf1ff
	v_add_co_ci_u32_e64 v53, s0, s7, v51, s0
	v_mul_f64_e32 v[26:27], s[2:3], v[28:29]
	v_fma_f64 v[30:31], v[97:98], v[0:1], v[65:66]
	v_fma_f64 v[32:33], v[97:98], v[2:3], -v[67:68]
	v_mul_f64_e32 v[0:1], s[2:3], v[79:80]
	v_mul_f64_e32 v[2:3], s[2:3], v[81:82]
	s_delay_alu instid0(VALU_DEP_4) | instskip(NEXT) | instid1(VALU_DEP_4)
	v_mul_f64_e32 v[28:29], s[2:3], v[30:31]
	v_mul_f64_e32 v[30:31], s[2:3], v[32:33]
	;; [unrolled: 1-line block ×4, first 2 shown]
	global_store_b128 v[46:47], v[0:3], off
	s_wait_loadcnt 0x0
	v_mul_f64_e32 v[73:74], v[101:102], v[6:7]
	v_mul_f64_e32 v[75:76], v[101:102], v[4:5]
	s_delay_alu instid0(VALU_DEP_2) | instskip(NEXT) | instid1(VALU_DEP_2)
	v_fma_f64 v[38:39], v[99:100], v[4:5], v[73:74]
	v_fma_f64 v[40:41], v[99:100], v[6:7], -v[75:76]
	v_mul_f64_e32 v[4:5], s[2:3], v[83:84]
	v_mul_f64_e32 v[6:7], s[2:3], v[85:86]
	s_delay_alu instid0(VALU_DEP_4) | instskip(NEXT) | instid1(VALU_DEP_4)
	v_mul_f64_e32 v[36:37], s[2:3], v[38:39]
	v_mul_f64_e32 v[38:39], s[2:3], v[40:41]
	;; [unrolled: 1-line block ×4, first 2 shown]
	v_add_co_u32 v44, s0, v52, s6
	s_wait_alu 0xf1ff
	v_add_co_ci_u32_e64 v45, s0, s7, v53, s0
	global_store_b128 v[48:49], v[4:7], off
	v_add_co_u32 v0, s0, v44, s6
	s_wait_alu 0xf1ff
	v_add_co_ci_u32_e64 v1, s0, s7, v45, s0
	global_store_b128 v[50:51], v[8:11], off
	;; [unrolled: 4-line block ×5, first 2 shown]
	v_add_co_u32 v8, s0, v6, s6
	s_wait_alu 0xf1ff
	v_add_co_ci_u32_e64 v9, s0, s7, v7, s0
	s_delay_alu instid0(VALU_DEP_2) | instskip(SKIP_1) | instid1(VALU_DEP_2)
	v_add_co_u32 v0, s0, v8, s6
	s_wait_alu 0xf1ff
	v_add_co_ci_u32_e64 v1, s0, s7, v9, s0
	global_store_b128 v[2:3], v[24:27], off
	global_store_b128 v[4:5], v[28:31], off
	global_store_b128 v[6:7], v[32:35], off
	global_store_b128 v[8:9], v[36:39], off
	global_store_b128 v[0:1], v[40:43], off
	s_and_b32 exec_lo, exec_lo, vcc_lo
	s_cbranch_execz .LBB0_15
; %bb.14:
	scratch_load_b64 v[16:17], off, off offset:4 th:TH_LOAD_LU ; 8-byte Folded Reload
	s_mul_i32 s0, s5, 0xffffb230
	s_wait_alu 0xfffe
	s_sub_co_i32 s0, s0, s4
	s_wait_loadcnt 0x0
	global_load_b128 v[2:5], v[16:17], off offset:816
	ds_load_b128 v[6:9], v255 offset:816
	ds_load_b128 v[10:13], v255 offset:2112
	s_wait_loadcnt_dscnt 0x1
	v_mul_f64_e32 v[14:15], v[8:9], v[4:5]
	v_mul_f64_e32 v[4:5], v[6:7], v[4:5]
	s_delay_alu instid0(VALU_DEP_2) | instskip(NEXT) | instid1(VALU_DEP_2)
	v_fma_f64 v[6:7], v[6:7], v[2:3], v[14:15]
	v_fma_f64 v[4:5], v[2:3], v[8:9], -v[4:5]
	s_delay_alu instid0(VALU_DEP_2) | instskip(NEXT) | instid1(VALU_DEP_2)
	v_mul_f64_e32 v[2:3], s[2:3], v[6:7]
	v_mul_f64_e32 v[4:5], s[2:3], v[4:5]
	v_mad_co_u64_u32 v[6:7], null, 0xffffb230, s4, v[0:1]
	s_wait_alu 0xfffe
	s_delay_alu instid0(VALU_DEP_1)
	v_add_nc_u32_e32 v7, s0, v7
	global_store_b128 v[6:7], v[2:5], off
	global_load_b128 v[0:3], v[16:17], off offset:2112
	s_wait_loadcnt_dscnt 0x0
	v_mul_f64_e32 v[4:5], v[12:13], v[2:3]
	v_mul_f64_e32 v[2:3], v[10:11], v[2:3]
	s_delay_alu instid0(VALU_DEP_2) | instskip(NEXT) | instid1(VALU_DEP_2)
	v_fma_f64 v[4:5], v[10:11], v[0:1], v[4:5]
	v_fma_f64 v[2:3], v[0:1], v[12:13], -v[2:3]
	v_add_co_u32 v12, vcc_lo, v6, s6
	s_wait_alu 0xfffd
	v_add_co_ci_u32_e32 v13, vcc_lo, s7, v7, vcc_lo
	s_delay_alu instid0(VALU_DEP_4) | instskip(NEXT) | instid1(VALU_DEP_4)
	v_mul_f64_e32 v[0:1], s[2:3], v[4:5]
	v_mul_f64_e32 v[2:3], s[2:3], v[2:3]
	global_store_b128 v[12:13], v[0:3], off
	global_load_b128 v[0:3], v[16:17], off offset:3408
	ds_load_b128 v[4:7], v255 offset:3408
	ds_load_b128 v[8:11], v255 offset:4704
	s_wait_loadcnt_dscnt 0x1
	v_mul_f64_e32 v[14:15], v[6:7], v[2:3]
	v_mul_f64_e32 v[2:3], v[4:5], v[2:3]
	s_delay_alu instid0(VALU_DEP_2) | instskip(NEXT) | instid1(VALU_DEP_2)
	v_fma_f64 v[4:5], v[4:5], v[0:1], v[14:15]
	v_fma_f64 v[2:3], v[0:1], v[6:7], -v[2:3]
	s_delay_alu instid0(VALU_DEP_2) | instskip(NEXT) | instid1(VALU_DEP_2)
	v_mul_f64_e32 v[0:1], s[2:3], v[4:5]
	v_mul_f64_e32 v[2:3], s[2:3], v[2:3]
	v_add_co_u32 v4, vcc_lo, v12, s6
	s_wait_alu 0xfffd
	v_add_co_ci_u32_e32 v5, vcc_lo, s7, v13, vcc_lo
	s_delay_alu instid0(VALU_DEP_2) | instskip(SKIP_1) | instid1(VALU_DEP_2)
	v_add_co_u32 v12, vcc_lo, v4, s6
	s_wait_alu 0xfffd
	v_add_co_ci_u32_e32 v13, vcc_lo, s7, v5, vcc_lo
	global_store_b128 v[4:5], v[0:3], off
	global_load_b128 v[0:3], v[16:17], off offset:4704
	s_wait_loadcnt_dscnt 0x0
	v_mul_f64_e32 v[6:7], v[10:11], v[2:3]
	v_mul_f64_e32 v[2:3], v[8:9], v[2:3]
	s_delay_alu instid0(VALU_DEP_2) | instskip(NEXT) | instid1(VALU_DEP_2)
	v_fma_f64 v[6:7], v[8:9], v[0:1], v[6:7]
	v_fma_f64 v[2:3], v[0:1], v[10:11], -v[2:3]
	s_delay_alu instid0(VALU_DEP_2) | instskip(NEXT) | instid1(VALU_DEP_2)
	v_mul_f64_e32 v[0:1], s[2:3], v[6:7]
	v_mul_f64_e32 v[2:3], s[2:3], v[2:3]
	global_store_b128 v[12:13], v[0:3], off
	global_load_b128 v[0:3], v[16:17], off offset:6000
	ds_load_b128 v[4:7], v255 offset:6000
	ds_load_b128 v[8:11], v255 offset:7296
	s_wait_loadcnt_dscnt 0x1
	v_mul_f64_e32 v[14:15], v[6:7], v[2:3]
	v_mul_f64_e32 v[2:3], v[4:5], v[2:3]
	s_delay_alu instid0(VALU_DEP_2) | instskip(NEXT) | instid1(VALU_DEP_2)
	v_fma_f64 v[4:5], v[4:5], v[0:1], v[14:15]
	v_fma_f64 v[2:3], v[0:1], v[6:7], -v[2:3]
	s_delay_alu instid0(VALU_DEP_2) | instskip(NEXT) | instid1(VALU_DEP_2)
	v_mul_f64_e32 v[0:1], s[2:3], v[4:5]
	v_mul_f64_e32 v[2:3], s[2:3], v[2:3]
	v_add_co_u32 v4, vcc_lo, v12, s6
	s_wait_alu 0xfffd
	v_add_co_ci_u32_e32 v5, vcc_lo, s7, v13, vcc_lo
	s_delay_alu instid0(VALU_DEP_2) | instskip(SKIP_1) | instid1(VALU_DEP_2)
	v_add_co_u32 v12, vcc_lo, v4, s6
	s_wait_alu 0xfffd
	v_add_co_ci_u32_e32 v13, vcc_lo, s7, v5, vcc_lo
	global_store_b128 v[4:5], v[0:3], off
	global_load_b128 v[0:3], v[16:17], off offset:7296
	s_wait_loadcnt_dscnt 0x0
	v_mul_f64_e32 v[6:7], v[10:11], v[2:3]
	v_mul_f64_e32 v[2:3], v[8:9], v[2:3]
	s_delay_alu instid0(VALU_DEP_2) | instskip(NEXT) | instid1(VALU_DEP_2)
	v_fma_f64 v[6:7], v[8:9], v[0:1], v[6:7]
	v_fma_f64 v[2:3], v[0:1], v[10:11], -v[2:3]
	s_delay_alu instid0(VALU_DEP_2) | instskip(NEXT) | instid1(VALU_DEP_2)
	;; [unrolled: 31-line block ×6, first 2 shown]
	v_mul_f64_e32 v[0:1], s[2:3], v[6:7]
	v_mul_f64_e32 v[2:3], s[2:3], v[2:3]
	global_store_b128 v[12:13], v[0:3], off
	global_load_b128 v[0:3], v[16:17], off offset:18960
	ds_load_b128 v[4:7], v255 offset:18960
	ds_load_b128 v[8:11], v255 offset:20256
	s_wait_loadcnt_dscnt 0x1
	v_mul_f64_e32 v[14:15], v[6:7], v[2:3]
	v_mul_f64_e32 v[2:3], v[4:5], v[2:3]
	s_delay_alu instid0(VALU_DEP_2) | instskip(NEXT) | instid1(VALU_DEP_2)
	v_fma_f64 v[4:5], v[4:5], v[0:1], v[14:15]
	v_fma_f64 v[2:3], v[0:1], v[6:7], -v[2:3]
	s_delay_alu instid0(VALU_DEP_2) | instskip(NEXT) | instid1(VALU_DEP_2)
	v_mul_f64_e32 v[0:1], s[2:3], v[4:5]
	v_mul_f64_e32 v[2:3], s[2:3], v[2:3]
	v_add_co_u32 v4, vcc_lo, v12, s6
	s_wait_alu 0xfffd
	v_add_co_ci_u32_e32 v5, vcc_lo, s7, v13, vcc_lo
	global_store_b128 v[4:5], v[0:3], off
	global_load_b128 v[0:3], v[16:17], off offset:20256
	s_wait_loadcnt_dscnt 0x0
	v_mul_f64_e32 v[6:7], v[10:11], v[2:3]
	v_mul_f64_e32 v[2:3], v[8:9], v[2:3]
	s_delay_alu instid0(VALU_DEP_2) | instskip(NEXT) | instid1(VALU_DEP_2)
	v_fma_f64 v[6:7], v[8:9], v[0:1], v[6:7]
	v_fma_f64 v[2:3], v[0:1], v[10:11], -v[2:3]
	v_add_co_u32 v8, vcc_lo, v4, s6
	s_wait_alu 0xfffd
	v_add_co_ci_u32_e32 v9, vcc_lo, s7, v5, vcc_lo
	s_delay_alu instid0(VALU_DEP_4) | instskip(NEXT) | instid1(VALU_DEP_4)
	v_mul_f64_e32 v[0:1], s[2:3], v[6:7]
	v_mul_f64_e32 v[2:3], s[2:3], v[2:3]
	ds_load_b128 v[4:7], v255 offset:21552
	global_store_b128 v[8:9], v[0:3], off
	global_load_b128 v[0:3], v[16:17], off offset:21552
	s_wait_loadcnt_dscnt 0x0
	v_mul_f64_e32 v[10:11], v[6:7], v[2:3]
	v_mul_f64_e32 v[2:3], v[4:5], v[2:3]
	s_delay_alu instid0(VALU_DEP_2) | instskip(NEXT) | instid1(VALU_DEP_2)
	v_fma_f64 v[4:5], v[4:5], v[0:1], v[10:11]
	v_fma_f64 v[2:3], v[0:1], v[6:7], -v[2:3]
	s_delay_alu instid0(VALU_DEP_2) | instskip(NEXT) | instid1(VALU_DEP_2)
	v_mul_f64_e32 v[0:1], s[2:3], v[4:5]
	v_mul_f64_e32 v[2:3], s[2:3], v[2:3]
	v_add_co_u32 v4, vcc_lo, v8, s6
	s_wait_alu 0xfffd
	v_add_co_ci_u32_e32 v5, vcc_lo, s7, v9, vcc_lo
	global_store_b128 v[4:5], v[0:3], off
.LBB0_15:
	s_nop 0
	s_sendmsg sendmsg(MSG_DEALLOC_VGPRS)
	s_endpgm
	.section	.rodata,"a",@progbits
	.p2align	6, 0x0
	.amdhsa_kernel bluestein_single_back_len1377_dim1_dp_op_CI_CI
		.amdhsa_group_segment_fixed_size 22032
		.amdhsa_private_segment_fixed_size 1728
		.amdhsa_kernarg_size 104
		.amdhsa_user_sgpr_count 2
		.amdhsa_user_sgpr_dispatch_ptr 0
		.amdhsa_user_sgpr_queue_ptr 0
		.amdhsa_user_sgpr_kernarg_segment_ptr 1
		.amdhsa_user_sgpr_dispatch_id 0
		.amdhsa_user_sgpr_private_segment_size 0
		.amdhsa_wavefront_size32 1
		.amdhsa_uses_dynamic_stack 0
		.amdhsa_enable_private_segment 1
		.amdhsa_system_sgpr_workgroup_id_x 1
		.amdhsa_system_sgpr_workgroup_id_y 0
		.amdhsa_system_sgpr_workgroup_id_z 0
		.amdhsa_system_sgpr_workgroup_info 0
		.amdhsa_system_vgpr_workitem_id 0
		.amdhsa_next_free_vgpr 256
		.amdhsa_next_free_sgpr 60
		.amdhsa_reserve_vcc 1
		.amdhsa_float_round_mode_32 0
		.amdhsa_float_round_mode_16_64 0
		.amdhsa_float_denorm_mode_32 3
		.amdhsa_float_denorm_mode_16_64 3
		.amdhsa_fp16_overflow 0
		.amdhsa_workgroup_processor_mode 1
		.amdhsa_memory_ordered 1
		.amdhsa_forward_progress 0
		.amdhsa_round_robin_scheduling 0
		.amdhsa_exception_fp_ieee_invalid_op 0
		.amdhsa_exception_fp_denorm_src 0
		.amdhsa_exception_fp_ieee_div_zero 0
		.amdhsa_exception_fp_ieee_overflow 0
		.amdhsa_exception_fp_ieee_underflow 0
		.amdhsa_exception_fp_ieee_inexact 0
		.amdhsa_exception_int_div_zero 0
	.end_amdhsa_kernel
	.text
.Lfunc_end0:
	.size	bluestein_single_back_len1377_dim1_dp_op_CI_CI, .Lfunc_end0-bluestein_single_back_len1377_dim1_dp_op_CI_CI
                                        ; -- End function
	.section	.AMDGPU.csdata,"",@progbits
; Kernel info:
; codeLenInByte = 50544
; NumSgprs: 62
; NumVgprs: 256
; ScratchSize: 1728
; MemoryBound: 0
; FloatMode: 240
; IeeeMode: 1
; LDSByteSize: 22032 bytes/workgroup (compile time only)
; SGPRBlocks: 7
; VGPRBlocks: 31
; NumSGPRsForWavesPerEU: 62
; NumVGPRsForWavesPerEU: 256
; Occupancy: 3
; WaveLimiterHint : 1
; COMPUTE_PGM_RSRC2:SCRATCH_EN: 1
; COMPUTE_PGM_RSRC2:USER_SGPR: 2
; COMPUTE_PGM_RSRC2:TRAP_HANDLER: 0
; COMPUTE_PGM_RSRC2:TGID_X_EN: 1
; COMPUTE_PGM_RSRC2:TGID_Y_EN: 0
; COMPUTE_PGM_RSRC2:TGID_Z_EN: 0
; COMPUTE_PGM_RSRC2:TIDIG_COMP_CNT: 0
	.text
	.p2alignl 7, 3214868480
	.fill 96, 4, 3214868480
	.type	__hip_cuid_be56fb0b22c97eb6,@object ; @__hip_cuid_be56fb0b22c97eb6
	.section	.bss,"aw",@nobits
	.globl	__hip_cuid_be56fb0b22c97eb6
__hip_cuid_be56fb0b22c97eb6:
	.byte	0                               ; 0x0
	.size	__hip_cuid_be56fb0b22c97eb6, 1

	.ident	"AMD clang version 19.0.0git (https://github.com/RadeonOpenCompute/llvm-project roc-6.4.0 25133 c7fe45cf4b819c5991fe208aaa96edf142730f1d)"
	.section	".note.GNU-stack","",@progbits
	.addrsig
	.addrsig_sym __hip_cuid_be56fb0b22c97eb6
	.amdgpu_metadata
---
amdhsa.kernels:
  - .args:
      - .actual_access:  read_only
        .address_space:  global
        .offset:         0
        .size:           8
        .value_kind:     global_buffer
      - .actual_access:  read_only
        .address_space:  global
        .offset:         8
        .size:           8
        .value_kind:     global_buffer
      - .actual_access:  read_only
        .address_space:  global
        .offset:         16
        .size:           8
        .value_kind:     global_buffer
      - .actual_access:  read_only
        .address_space:  global
        .offset:         24
        .size:           8
        .value_kind:     global_buffer
      - .actual_access:  read_only
        .address_space:  global
        .offset:         32
        .size:           8
        .value_kind:     global_buffer
      - .offset:         40
        .size:           8
        .value_kind:     by_value
      - .address_space:  global
        .offset:         48
        .size:           8
        .value_kind:     global_buffer
      - .address_space:  global
        .offset:         56
        .size:           8
        .value_kind:     global_buffer
      - .address_space:  global
        .offset:         64
        .size:           8
        .value_kind:     global_buffer
      - .address_space:  global
        .offset:         72
        .size:           8
        .value_kind:     global_buffer
      - .offset:         80
        .size:           4
        .value_kind:     by_value
      - .address_space:  global
        .offset:         88
        .size:           8
        .value_kind:     global_buffer
      - .address_space:  global
        .offset:         96
        .size:           8
        .value_kind:     global_buffer
    .group_segment_fixed_size: 22032
    .kernarg_segment_align: 8
    .kernarg_segment_size: 104
    .language:       OpenCL C
    .language_version:
      - 2
      - 0
    .max_flat_workgroup_size: 51
    .name:           bluestein_single_back_len1377_dim1_dp_op_CI_CI
    .private_segment_fixed_size: 1728
    .sgpr_count:     62
    .sgpr_spill_count: 0
    .symbol:         bluestein_single_back_len1377_dim1_dp_op_CI_CI.kd
    .uniform_work_group_size: 1
    .uses_dynamic_stack: false
    .vgpr_count:     256
    .vgpr_spill_count: 660
    .wavefront_size: 32
    .workgroup_processor_mode: 1
amdhsa.target:   amdgcn-amd-amdhsa--gfx1201
amdhsa.version:
  - 1
  - 2
...

	.end_amdgpu_metadata
